;; amdgpu-corpus repo=ROCm/rocFFT kind=compiled arch=gfx1201 opt=O3
	.text
	.amdgcn_target "amdgcn-amd-amdhsa--gfx1201"
	.amdhsa_code_object_version 6
	.protected	bluestein_single_back_len374_dim1_sp_op_CI_CI ; -- Begin function bluestein_single_back_len374_dim1_sp_op_CI_CI
	.globl	bluestein_single_back_len374_dim1_sp_op_CI_CI
	.p2align	8
	.type	bluestein_single_back_len374_dim1_sp_op_CI_CI,@function
bluestein_single_back_len374_dim1_sp_op_CI_CI: ; @bluestein_single_back_len374_dim1_sp_op_CI_CI
; %bb.0:
	s_load_b128 s[4:7], s[0:1], 0x28
	v_mul_u32_u24_e32 v1, 0x788, v0
	s_mov_b32 s2, exec_lo
	s_delay_alu instid0(VALU_DEP_1) | instskip(NEXT) | instid1(VALU_DEP_1)
	v_lshrrev_b32_e32 v1, 16, v1
	v_mad_co_u64_u32 v[48:49], null, ttmp9, 7, v[1:2]
	v_mov_b32_e32 v49, 0
                                        ; kill: def $vgpr2 killed $sgpr0 killed $exec
	s_wait_kmcnt 0x0
	s_delay_alu instid0(VALU_DEP_1)
	v_cmpx_gt_u64_e64 s[4:5], v[48:49]
	s_cbranch_execz .LBB0_23
; %bb.1:
	v_mul_hi_u32 v2, 0x24924925, v48
	v_mul_lo_u16 v1, v1, 34
	s_clause 0x1
	s_load_b64 s[12:13], s[0:1], 0x0
	s_load_b64 s[14:15], s[0:1], 0x38
	s_delay_alu instid0(VALU_DEP_1) | instskip(NEXT) | instid1(VALU_DEP_3)
	v_sub_nc_u16 v0, v0, v1
	v_sub_nc_u32_e32 v3, v48, v2
	s_delay_alu instid0(VALU_DEP_2) | instskip(SKIP_1) | instid1(VALU_DEP_3)
	v_and_b32_e32 v85, 0xffff, v0
	v_cmp_gt_u16_e32 vcc_lo, 22, v0
	v_lshrrev_b32_e32 v3, 1, v3
	s_delay_alu instid0(VALU_DEP_3) | instskip(SKIP_1) | instid1(VALU_DEP_3)
	v_lshlrev_b32_e32 v84, 3, v85
	v_or_b32_e32 v83, 0x160, v85
	v_add_nc_u32_e32 v2, v3, v2
	s_delay_alu instid0(VALU_DEP_1) | instskip(NEXT) | instid1(VALU_DEP_1)
	v_lshrrev_b32_e32 v2, 2, v2
	v_mul_lo_u32 v2, v2, 7
	s_delay_alu instid0(VALU_DEP_1) | instskip(NEXT) | instid1(VALU_DEP_1)
	v_sub_nc_u32_e32 v1, v48, v2
	v_mul_u32_u24_e32 v44, 0x176, v1
	s_delay_alu instid0(VALU_DEP_1)
	v_lshlrev_b32_e32 v86, 3, v44
	s_and_saveexec_b32 s3, vcc_lo
	s_cbranch_execz .LBB0_3
; %bb.2:
	s_load_b64 s[4:5], s[0:1], 0x18
	s_delay_alu instid0(VALU_DEP_1)
	v_lshl_add_u32 v73, v85, 3, v86
	s_wait_kmcnt 0x0
	s_load_b128 s[8:11], s[4:5], 0x0
	s_clause 0x7
	global_load_b64 v[4:5], v84, s[12:13]
	global_load_b64 v[6:7], v84, s[12:13] offset:176
	global_load_b64 v[8:9], v84, s[12:13] offset:352
	;; [unrolled: 1-line block ×7, first 2 shown]
	v_add_nc_u32_e32 v47, v86, v84
	s_delay_alu instid0(VALU_DEP_1) | instskip(SKIP_4) | instid1(VALU_DEP_1)
	v_add_nc_u32_e32 v74, 0x400, v47
	s_wait_kmcnt 0x0
	v_mad_co_u64_u32 v[0:1], null, s10, v48, 0
	v_mad_co_u64_u32 v[2:3], null, s8, v85, 0
	s_mul_u64 s[4:5], s[8:9], 0xb0
	v_mad_co_u64_u32 v[20:21], null, s11, v48, v[1:2]
	v_mad_co_u64_u32 v[21:22], null, s8, v83, 0
	s_delay_alu instid0(VALU_DEP_1) | instskip(NEXT) | instid1(VALU_DEP_1)
	v_dual_mov_b32 v1, v20 :: v_dual_mov_b32 v20, v22
	v_lshlrev_b64_e32 v[0:1], 3, v[0:1]
	s_wait_loadcnt 0x7
	v_mad_co_u64_u32 v[23:24], null, s9, v85, v[3:4]
	s_clause 0x6
	global_load_b64 v[24:25], v84, s[12:13] offset:1408
	global_load_b64 v[26:27], v84, s[12:13] offset:1584
	;; [unrolled: 1-line block ×7, first 2 shown]
	v_mov_b32_e32 v3, v23
	v_mad_co_u64_u32 v[22:23], null, s9, v83, v[20:21]
	v_add_co_u32 v23, s2, s6, v0
	s_delay_alu instid0(VALU_DEP_3) | instskip(SKIP_1) | instid1(VALU_DEP_2)
	v_lshlrev_b64_e32 v[2:3], 3, v[2:3]
	v_add_co_ci_u32_e64 v38, s2, s7, v1, s2
	v_add_co_u32 v0, s2, v23, v2
	s_wait_alu 0xf1ff
	s_delay_alu instid0(VALU_DEP_2)
	v_add_co_ci_u32_e64 v1, s2, v38, v3, s2
	v_lshlrev_b64_e32 v[2:3], 3, v[21:22]
	s_wait_alu 0xfffe
	v_add_co_u32 v20, s2, v0, s4
	s_wait_alu 0xf1ff
	v_add_co_ci_u32_e64 v21, s2, s5, v1, s2
	global_load_b64 v[0:1], v[0:1], off
	v_add_co_u32 v2, s2, v23, v2
	s_wait_alu 0xf1ff
	v_add_co_ci_u32_e64 v3, s2, v38, v3, s2
	v_add_co_u32 v22, s2, v20, s4
	s_wait_alu 0xf1ff
	v_add_co_ci_u32_e64 v23, s2, s5, v21, s2
	global_load_b64 v[2:3], v[2:3], off
	v_add_co_u32 v38, s2, v22, s4
	s_wait_alu 0xf1ff
	v_add_co_ci_u32_e64 v39, s2, s5, v23, s2
	s_delay_alu instid0(VALU_DEP_2) | instskip(SKIP_1) | instid1(VALU_DEP_2)
	v_add_co_u32 v40, s2, v38, s4
	s_wait_alu 0xf1ff
	v_add_co_ci_u32_e64 v41, s2, s5, v39, s2
	s_clause 0x2
	global_load_b64 v[20:21], v[20:21], off
	global_load_b64 v[22:23], v[22:23], off
	;; [unrolled: 1-line block ×3, first 2 shown]
	v_add_co_u32 v42, s2, v40, s4
	s_wait_alu 0xf1ff
	v_add_co_ci_u32_e64 v43, s2, s5, v41, s2
	global_load_b64 v[40:41], v[40:41], off
	v_add_co_u32 v45, s2, v42, s4
	s_wait_alu 0xf1ff
	v_add_co_ci_u32_e64 v46, s2, s5, v43, s2
	global_load_b64 v[42:43], v[42:43], off
	;; [unrolled: 4-line block ×11, first 2 shown]
	s_clause 0x1
	global_load_b64 v[67:68], v84, s[12:13] offset:2464
	global_load_b64 v[69:70], v84, s[12:13] offset:2640
	global_load_b64 v[65:66], v[65:66], off
	s_wait_loadcnt 0x12
	v_mul_f32_e32 v71, v1, v5
	v_dual_mul_f32 v72, v0, v5 :: v_dual_add_nc_u32 v75, 0x800, v47
	s_delay_alu instid0(VALU_DEP_2) | instskip(NEXT) | instid1(VALU_DEP_2)
	v_fmac_f32_e32 v71, v0, v4
	v_fma_f32 v72, v1, v4, -v72
	s_wait_loadcnt 0x11
	v_mul_f32_e32 v5, v3, v37
	s_wait_loadcnt 0x10
	v_dual_mul_f32 v37, v2, v37 :: v_dual_mul_f32 v0, v21, v7
	v_mul_f32_e32 v1, v20, v7
	s_delay_alu instid0(VALU_DEP_3)
	v_fmac_f32_e32 v5, v2, v36
	s_wait_loadcnt 0xf
	v_mul_f32_e32 v7, v23, v9
	v_mul_f32_e32 v2, v22, v9
	v_fmac_f32_e32 v0, v20, v6
	v_fma_f32 v1, v21, v6, -v1
	s_wait_loadcnt 0xe
	v_mul_f32_e32 v9, v39, v11
	v_fmac_f32_e32 v7, v22, v8
	s_wait_loadcnt 0xd
	v_dual_mul_f32 v4, v38, v11 :: v_dual_mul_f32 v11, v41, v13
	v_mul_f32_e32 v6, v40, v13
	v_fma_f32 v8, v23, v8, -v2
	ds_store_b64 v73, v[71:72]
	s_wait_loadcnt 0xc
	v_mul_f32_e32 v2, v42, v15
	ds_store_2addr_b64 v47, v[0:1], v[7:8] offset0:22 offset1:44
	s_wait_loadcnt 0xb
	v_mul_f32_e32 v0, v46, v17
	v_fma_f32 v7, v43, v14, -v2
	s_wait_loadcnt 0xa
	v_dual_mul_f32 v8, v50, v19 :: v_dual_fmac_f32 v11, v40, v12
	v_fma_f32 v12, v41, v12, -v6
	v_mul_f32_e32 v6, v43, v15
	v_fmac_f32_e32 v0, v45, v16
	v_mul_f32_e32 v2, v49, v19
	v_fmac_f32_e32 v8, v49, v18
	s_delay_alu instid0(VALU_DEP_4)
	v_fmac_f32_e32 v6, v42, v14
	v_fmac_f32_e32 v9, v38, v10
	v_fma_f32 v10, v39, v10, -v4
	s_wait_loadcnt 0x9
	v_mul_f32_e32 v4, v51, v25
	ds_store_2addr_b64 v47, v[9:10], v[11:12] offset0:66 offset1:88
	v_mul_f32_e32 v10, v52, v25
	v_mul_f32_e32 v1, v45, v17
	v_fma_f32 v9, v50, v18, -v2
	v_fma_f32 v11, v52, v24, -v4
	s_wait_loadcnt 0x7
	v_mul_f32_e32 v2, v55, v29
	v_fmac_f32_e32 v10, v51, v24
	v_fma_f32 v1, v46, v16, -v1
	ds_store_2addr_b64 v47, v[6:7], v[0:1] offset0:110 offset1:132
	v_dual_mul_f32 v7, v56, v29 :: v_dual_mul_f32 v0, v54, v27
	ds_store_2addr_b64 v47, v[8:9], v[10:11] offset0:154 offset1:176
	s_wait_loadcnt 0x6
	v_mul_f32_e32 v9, v58, v31
	v_fma_f32 v8, v56, v28, -v2
	v_dual_fmac_f32 v7, v55, v28 :: v_dual_fmac_f32 v0, v53, v26
	s_wait_loadcnt 0x5
	v_dual_mul_f32 v11, v60, v33 :: v_dual_mul_f32 v2, v57, v31
	v_dual_mul_f32 v4, v59, v33 :: v_dual_fmac_f32 v9, v57, v30
	v_mul_f32_e32 v1, v53, v27
	s_wait_loadcnt 0x4
	v_mul_f32_e32 v13, v62, v35
	v_fmac_f32_e32 v11, v59, v32
	v_fma_f32 v10, v58, v30, -v2
	v_fma_f32 v12, v60, v32, -v4
	s_wait_loadcnt 0x2
	v_mul_f32_e32 v4, v63, v68
	v_dual_mul_f32 v2, v61, v35 :: v_dual_mul_f32 v15, v64, v68
	s_wait_loadcnt 0x0
	v_mul_f32_e32 v17, v66, v70
	v_mul_f32_e32 v6, v65, v70
	v_fma_f32 v1, v54, v26, -v1
	v_fmac_f32_e32 v13, v61, v34
	v_fmac_f32_e32 v15, v63, v67
	v_fma_f32 v14, v62, v34, -v2
	v_fma_f32 v16, v64, v67, -v4
	v_fmac_f32_e32 v17, v65, v69
	v_fma_f32 v18, v66, v69, -v6
	v_fma_f32 v6, v3, v36, -v37
	ds_store_2addr_b64 v47, v[0:1], v[7:8] offset0:198 offset1:220
	ds_store_2addr_b64 v74, v[9:10], v[11:12] offset0:114 offset1:136
	;; [unrolled: 1-line block ×4, first 2 shown]
.LBB0_3:
	s_or_b32 exec_lo, exec_lo, s3
	v_mov_b32_e32 v4, 0
	v_mov_b32_e32 v5, 0
	global_wb scope:SCOPE_SE
	s_wait_dscnt 0x0
	s_wait_kmcnt 0x0
	s_barrier_signal -1
	s_barrier_wait -1
	global_inv scope:SCOPE_SE
                                        ; implicit-def: $vgpr22
                                        ; implicit-def: $vgpr18
                                        ; implicit-def: $vgpr12
                                        ; implicit-def: $vgpr8
                                        ; implicit-def: $vgpr40
                                        ; implicit-def: $vgpr30
                                        ; implicit-def: $vgpr34
                                        ; implicit-def: $vgpr26
	s_and_saveexec_b32 s2, vcc_lo
	s_cbranch_execz .LBB0_5
; %bb.4:
	v_lshl_add_u32 v0, v44, 3, v84
	ds_load_2addr_b64 v[4:7], v0 offset1:22
	ds_load_2addr_b64 v[24:27], v0 offset0:44 offset1:66
	v_add_nc_u32_e32 v1, 0x800, v0
	ds_load_2addr_b64 v[32:35], v0 offset0:88 offset1:110
	ds_load_2addr_b64 v[28:31], v0 offset0:132 offset1:154
	;; [unrolled: 1-line block ×6, first 2 shown]
	ds_load_b64 v[40:41], v0 offset:2816
.LBB0_5:
	s_wait_alu 0xfffe
	s_or_b32 exec_lo, exec_lo, s2
	s_wait_dscnt 0x0
	v_dual_sub_f32 v42, v7, v41 :: v_dual_sub_f32 v43, v6, v40
	v_dual_add_f32 v45, v40, v6 :: v_dual_add_f32 v46, v41, v7
	v_dual_sub_f32 v116, v25, v11 :: v_dual_add_f32 v55, v11, v25
	s_delay_alu instid0(VALU_DEP_3) | instskip(SKIP_1) | instid1(VALU_DEP_2)
	v_dual_mul_f32 v64, 0xbf2c7751, v42 :: v_dual_mul_f32 v67, 0xbf2c7751, v43
	v_dual_mul_f32 v57, 0xbeb8f4ab, v42 :: v_dual_sub_f32 v122, v27, v9
	v_dual_add_f32 v61, v14, v32 :: v_dual_fmamk_f32 v2, v45, 0x3f3d2fb0, v64
	v_sub_f32_e32 v117, v24, v10
	v_mul_f32_e32 v59, 0xbeb8f4ab, v43
	v_fma_f32 v3, 0x3f3d2fb0, v46, -v67
	v_mul_f32_e32 v71, 0xbf7ee86f, v116
	v_add_f32_e32 v2, v2, v4
	v_mul_f32_e32 v74, 0xbf7ee86f, v117
	v_fma_f32 v1, 0x3f6eb680, v46, -v59
	v_dual_mul_f32 v70, 0xbf65296c, v42 :: v_dual_add_f32 v47, v10, v24
	v_dual_fmamk_f32 v0, v45, 0x3f6eb680, v57 :: v_dual_add_f32 v3, v3, v5
	s_delay_alu instid0(VALU_DEP_3) | instskip(NEXT) | instid1(VALU_DEP_3)
	v_add_f32_e32 v1, v1, v5
	v_fmamk_f32 v36, v45, 0x3ee437d1, v70
	v_mul_f32_e32 v77, 0xbf65296c, v43
	v_fma_f32 v50, 0x3dbcf732, v55, -v74
	v_mul_f32_e32 v62, 0xbf2c7751, v117
	v_add_f32_e32 v0, v0, v4
	v_add_f32_e32 v36, v36, v4
	v_fma_f32 v37, 0x3ee437d1, v46, -v77
	v_dual_add_f32 v3, v50, v3 :: v_dual_mul_f32 v60, 0xbf2c7751, v116
	v_sub_f32_e32 v123, v26, v8
	v_fma_f32 v39, 0x3f3d2fb0, v55, -v62
	s_delay_alu instid0(VALU_DEP_4)
	v_add_f32_e32 v37, v37, v5
	v_dual_add_f32 v58, v9, v27 :: v_dual_mul_f32 v65, 0xbf65296c, v122
	v_fmamk_f32 v38, v47, 0x3f3d2fb0, v60
	v_fmamk_f32 v49, v47, 0x3dbcf732, v71
	v_dual_mul_f32 v66, 0xbf65296c, v123 :: v_dual_add_f32 v63, v15, v33
	v_dual_mul_f32 v76, 0xbf4c4adb, v116 :: v_dual_mul_f32 v79, 0xbf4c4adb, v122
	s_delay_alu instid0(VALU_DEP_4) | instskip(NEXT) | instid1(VALU_DEP_4)
	v_dual_add_f32 v0, v38, v0 :: v_dual_add_f32 v1, v39, v1
	v_add_f32_e32 v2, v49, v2
	v_dual_mul_f32 v90, 0xbf4c4adb, v117 :: v_dual_mul_f32 v81, 0xbf4c4adb, v123
	v_fma_f32 v49, 0x3ee437d1, v58, -v66
	v_fmamk_f32 v38, v47, 0xbf1a4643, v76
	v_dual_sub_f32 v130, v32, v14 :: v_dual_add_f32 v69, v13, v35
	s_delay_alu instid0(VALU_DEP_4) | instskip(NEXT) | instid1(VALU_DEP_4)
	v_fma_f32 v39, 0xbf1a4643, v55, -v90
	v_dual_add_f32 v56, v8, v26 :: v_dual_add_f32 v1, v49, v1
	v_mul_f32_e32 v100, 0x3e3c28d5, v123
	v_dual_add_f32 v36, v38, v36 :: v_dual_mul_f32 v91, 0x3e3c28d5, v122
	s_delay_alu instid0(VALU_DEP_4) | instskip(SKIP_1) | instid1(VALU_DEP_4)
	v_dual_add_f32 v37, v39, v37 :: v_dual_sub_f32 v126, v33, v15
	v_mul_f32_e32 v73, 0xbf7ee86f, v130
	v_fma_f32 v39, 0xbf7ba420, v58, -v100
	v_fmamk_f32 v38, v56, 0x3ee437d1, v65
	v_dual_mul_f32 v98, 0xbe3c28d5, v130 :: v_dual_add_f32 v75, v18, v28
	v_dual_mul_f32 v72, 0xbf7ee86f, v126 :: v_dual_sub_f32 v143, v34, v12
	s_delay_alu instid0(VALU_DEP_3) | instskip(SKIP_1) | instid1(VALU_DEP_3)
	v_dual_add_f32 v37, v39, v37 :: v_dual_add_f32 v0, v38, v0
	v_fma_f32 v38, 0xbf1a4643, v58, -v81
	v_fmamk_f32 v49, v61, 0x3dbcf732, v72
	v_fmamk_f32 v50, v56, 0xbf1a4643, v79
	v_fma_f32 v39, 0xbf7ba420, v63, -v98
	v_dual_mul_f32 v102, 0x3f06c442, v143 :: v_dual_sub_f32 v159, v20, v22
	v_add_f32_e32 v3, v38, v3
	s_delay_alu instid0(VALU_DEP_4) | instskip(SKIP_2) | instid1(VALU_DEP_4)
	v_dual_add_f32 v2, v50, v2 :: v_dual_sub_f32 v137, v35, v13
	v_fmamk_f32 v38, v56, 0xbf7ba420, v91
	v_dual_mul_f32 v96, 0xbe3c28d5, v126 :: v_dual_sub_f32 v145, v29, v19
	v_add_f32_e32 v3, v39, v3
	v_fma_f32 v39, 0xbf59a7d5, v69, -v102
	v_add_f32_e32 v68, v12, v34
	v_mul_f32_e32 v80, 0xbf763a35, v137
	v_mul_f32_e32 v82, 0xbf763a35, v143
	v_dual_mul_f32 v92, 0xbf4c4adb, v145 :: v_dual_add_f32 v89, v17, v31
	v_dual_add_f32 v3, v39, v3 :: v_dual_add_f32 v36, v38, v36
	v_fma_f32 v38, 0x3dbcf732, v63, -v73
	v_dual_sub_f32 v146, v28, v18 :: v_dual_mul_f32 v105, 0x3f763a35, v145
	v_sub_f32_e32 v155, v30, v16
	v_dual_add_f32 v0, v49, v0 :: v_dual_mul_f32 v101, 0x3f06c442, v137
	s_delay_alu instid0(VALU_DEP_4) | instskip(NEXT) | instid1(VALU_DEP_4)
	v_dual_add_f32 v1, v38, v1 :: v_dual_fmamk_f32 v38, v61, 0xbf7ba420, v96
	v_dual_mul_f32 v106, 0x3f763a35, v146 :: v_dual_add_f32 v95, v23, v21
	v_add_f32_e32 v88, v16, v30
	v_sub_f32_e32 v148, v31, v17
	s_delay_alu instid0(VALU_DEP_4) | instskip(SKIP_2) | instid1(VALU_DEP_4)
	v_add_f32_e32 v2, v38, v2
	v_fma_f32 v38, 0xbe8c1d8e, v69, -v82
	v_dual_add_f32 v78, v19, v29 :: v_dual_mul_f32 v93, 0xbf4c4adb, v146
	v_mul_f32_e32 v97, 0xbf06c442, v148
	v_mul_f32_e32 v107, 0x3f65296c, v148
	s_delay_alu instid0(VALU_DEP_4) | instskip(SKIP_4) | instid1(VALU_DEP_4)
	v_add_f32_e32 v1, v38, v1
	v_fmamk_f32 v49, v68, 0xbe8c1d8e, v80
	v_fma_f32 v39, 0xbe8c1d8e, v78, -v106
	v_fmamk_f32 v38, v68, 0xbf59a7d5, v101
	v_mul_f32_e32 v104, 0xbe3c28d5, v159
	v_dual_mul_f32 v99, 0xbf06c442, v155 :: v_dual_add_f32 v0, v49, v0
	v_fmamk_f32 v49, v75, 0xbf1a4643, v92
	s_delay_alu instid0(VALU_DEP_4) | instskip(SKIP_2) | instid1(VALU_DEP_4)
	v_dual_add_f32 v3, v39, v3 :: v_dual_add_f32 v2, v38, v2
	v_fma_f32 v38, 0xbf1a4643, v78, -v93
	v_add_f32_e32 v94, v22, v20
	v_dual_add_f32 v0, v49, v0 :: v_dual_fmamk_f32 v49, v88, 0xbf59a7d5, v97
	s_delay_alu instid0(VALU_DEP_3) | instskip(SKIP_2) | instid1(VALU_DEP_3)
	v_dual_sub_f32 v158, v21, v23 :: v_dual_add_f32 v1, v38, v1
	v_fmamk_f32 v39, v88, 0x3ee437d1, v107
	v_mul_f32_e32 v118, 0x3f763a35, v130
	v_dual_add_f32 v0, v49, v0 :: v_dual_mul_f32 v103, 0xbe3c28d5, v158
	v_fma_f32 v49, 0xbf7ba420, v95, -v104
	v_fmamk_f32 v38, v75, 0xbe8c1d8e, v105
	v_mul_f32_e32 v119, 0x3f2c7751, v143
	v_mul_f32_e32 v113, 0xbeb8f4ab, v145
	v_dual_mul_f32 v129, 0xbf65296c, v137 :: v_dual_mul_f32 v142, 0xbf65296c, v143
	s_delay_alu instid0(VALU_DEP_4) | instskip(SKIP_4) | instid1(VALU_DEP_4)
	v_add_f32_e32 v2, v38, v2
	v_fma_f32 v38, 0xbf59a7d5, v89, -v99
	v_mul_f32_e32 v108, 0x3f65296c, v155
	v_mul_f32_e32 v121, 0xbf7ee86f, v155
	v_fma_f32 v52, 0x3ee437d1, v69, -v142
	v_dual_mul_f32 v114, 0xbf7ee86f, v148 :: v_dual_add_f32 v1, v38, v1
	v_add_f32_e32 v38, v39, v2
	v_fma_f32 v2, 0x3ee437d1, v89, -v108
	v_mul_f32_e32 v111, 0x3f763a35, v126
	v_fmamk_f32 v39, v94, 0xbf7ba420, v103
	v_mul_f32_e32 v109, 0x3eb8f4ab, v158
	s_delay_alu instid0(VALU_DEP_4)
	v_dual_mul_f32 v115, 0xbf06c442, v158 :: v_dual_add_f32 v50, v2, v3
	v_add_f32_e32 v3, v49, v1
	v_fma_f32 v1, 0xbe8c1d8e, v63, -v118
	v_add_f32_e32 v2, v39, v0
	v_fmamk_f32 v0, v61, 0xbe8c1d8e, v111
	v_fmamk_f32 v39, v94, 0x3f6eb680, v109
	v_mul_f32_e32 v139, 0xbe3c28d5, v117
	v_add_f32_e32 v1, v1, v37
	v_fma_f32 v37, 0x3f3d2fb0, v69, -v119
	v_mul_f32_e32 v110, 0x3eb8f4ab, v159
	v_add_f32_e32 v0, v0, v36
	v_mul_f32_e32 v128, 0xbf7ee86f, v42
	s_delay_alu instid0(VALU_DEP_4) | instskip(NEXT) | instid1(VALU_DEP_4)
	v_dual_mul_f32 v138, 0xbf7ee86f, v43 :: v_dual_add_f32 v1, v37, v1
	v_fma_f32 v49, 0x3f6eb680, v95, -v110
	v_mul_f32_e32 v112, 0x3f2c7751, v137
	v_fmamk_f32 v37, v75, 0x3f6eb680, v113
	v_dual_mul_f32 v132, 0xbe3c28d5, v116 :: v_dual_mul_f32 v149, 0xbe3c28d5, v137
	v_mul_f32_e32 v134, 0x3f2c7751, v158
	s_delay_alu instid0(VALU_DEP_4) | instskip(SKIP_2) | instid1(VALU_DEP_3)
	v_fmamk_f32 v36, v68, 0x3f3d2fb0, v112
	v_dual_mul_f32 v125, 0x3f763a35, v122 :: v_dual_mul_f32 v140, 0x3f763a35, v123
	v_mul_f32_e32 v127, 0x3eb8f4ab, v126
	v_dual_fmamk_f32 v53, v94, 0x3f3d2fb0, v134 :: v_dual_add_f32 v36, v36, v0
	v_add_f32_e32 v0, v39, v38
	v_fma_f32 v39, 0x3dbcf732, v89, -v121
	v_dual_mul_f32 v124, 0xbf06c442, v159 :: v_dual_mul_f32 v131, 0xbf06c442, v145
	s_delay_alu instid0(VALU_DEP_4) | instskip(SKIP_2) | instid1(VALU_DEP_3)
	v_dual_add_f32 v36, v37, v36 :: v_dual_fmamk_f32 v37, v88, 0x3dbcf732, v114
	v_dual_mul_f32 v133, 0x3f4c4adb, v148 :: v_dual_mul_f32 v136, 0x3f4c4adb, v155
	v_mul_f32_e32 v150, 0xbf763a35, v42
	v_dual_mul_f32 v193, 0xbf06c442, v42 :: v_dual_add_f32 v36, v37, v36
	v_mul_f32_e32 v120, 0xbeb8f4ab, v146
	v_mul_f32_e32 v152, 0x3f06c442, v116
	;; [unrolled: 1-line block ×3, first 2 shown]
	s_delay_alu instid0(VALU_DEP_4)
	v_fmamk_f32 v166, v45, 0xbf59a7d5, v193
	v_mul_f32_e32 v160, 0xbf763a35, v43
	v_fma_f32 v51, 0x3f6eb680, v78, -v120
	v_mul_f32_e32 v154, 0x3f2c7751, v122
	v_dual_mul_f32 v191, 0xbf06c442, v130 :: v_dual_mul_f32 v206, 0xbf06c442, v43
	v_dual_mul_f32 v179, 0xbf2c7751, v145 :: v_dual_mul_f32 v186, 0xbf2c7751, v146
	s_delay_alu instid0(VALU_DEP_4) | instskip(SKIP_3) | instid1(VALU_DEP_4)
	v_dual_add_f32 v38, v51, v1 :: v_dual_add_f32 v1, v49, v50
	v_fmamk_f32 v49, v94, 0xbf59a7d5, v115
	v_fmamk_f32 v50, v47, 0xbf7ba420, v132
	v_fma_f32 v51, 0xbf7ba420, v55, -v139
	v_dual_add_f32 v37, v39, v38 :: v_dual_fmamk_f32 v38, v45, 0x3dbcf732, v128
	v_fma_f32 v39, 0x3dbcf732, v46, -v138
	v_add_f32_e32 v49, v49, v36
	v_mul_f32_e32 v163, 0x3f2c7751, v123
	s_delay_alu instid0(VALU_DEP_4) | instskip(NEXT) | instid1(VALU_DEP_4)
	v_dual_mul_f32 v147, 0xbf65296c, v126 :: v_dual_add_f32 v38, v38, v4
	v_add_f32_e32 v39, v39, v5
	v_fma_f32 v167, 0xbf59a7d5, v46, -v206
	v_mul_f32_e32 v208, 0x3f65296c, v117
	s_delay_alu instid0(VALU_DEP_4)
	v_fmamk_f32 v54, v61, 0x3ee437d1, v147
	v_add_f32_e32 v36, v50, v38
	v_dual_add_f32 v38, v51, v39 :: v_dual_fmamk_f32 v39, v56, 0xbe8c1d8e, v125
	v_fma_f32 v50, 0xbe8c1d8e, v58, -v140
	v_mul_f32_e32 v141, 0x3eb8f4ab, v130
	v_fma_f32 v51, 0xbf59a7d5, v95, -v124
	s_delay_alu instid0(VALU_DEP_4) | instskip(NEXT) | instid1(VALU_DEP_4)
	v_dual_mul_f32 v135, 0xbf06c442, v146 :: v_dual_add_f32 v36, v39, v36
	v_dual_add_f32 v38, v50, v38 :: v_dual_fmamk_f32 v39, v61, 0x3f6eb680, v127
	s_delay_alu instid0(VALU_DEP_4)
	v_fma_f32 v50, 0x3f6eb680, v63, -v141
	v_mul_f32_e32 v164, 0xbf65296c, v130
	v_mul_f32_e32 v165, 0xbe3c28d5, v143
	v_dual_mul_f32 v200, 0xbf7ee86f, v122 :: v_dual_mul_f32 v207, 0xbf7ee86f, v123
	v_dual_add_f32 v36, v39, v36 :: v_dual_fmamk_f32 v39, v68, 0x3ee437d1, v129
	v_add_f32_e32 v38, v50, v38
	v_dual_add_f32 v50, v51, v37 :: v_dual_fmamk_f32 v51, v45, 0xbe8c1d8e, v150
	v_add_f32_e32 v167, v167, v5
	s_delay_alu instid0(VALU_DEP_3) | instskip(SKIP_4) | instid1(VALU_DEP_4)
	v_dual_add_f32 v36, v39, v36 :: v_dual_add_f32 v37, v52, v38
	v_fmamk_f32 v38, v75, 0xbf59a7d5, v131
	v_fma_f32 v39, 0xbf59a7d5, v78, -v135
	v_fmamk_f32 v52, v56, 0x3f3d2fb0, v154
	v_fma_f32 v168, 0x3ee437d1, v55, -v208
	v_dual_mul_f32 v151, 0x3f7ee86f, v145 :: v_dual_add_f32 v36, v38, v36
	s_delay_alu instid0(VALU_DEP_4) | instskip(SKIP_1) | instid1(VALU_DEP_4)
	v_dual_add_f32 v37, v39, v37 :: v_dual_fmamk_f32 v38, v88, 0xbf1a4643, v133
	v_fma_f32 v39, 0xbf1a4643, v89, -v136
	v_dual_mul_f32 v182, 0xbeb8f4ab, v122 :: v_dual_add_f32 v167, v168, v167
	v_fma_f32 v168, 0x3dbcf732, v58, -v207
	s_delay_alu instid0(VALU_DEP_3)
	v_dual_mul_f32 v144, 0x3f2c7751, v159 :: v_dual_add_f32 v37, v39, v37
	v_dual_fmamk_f32 v39, v47, 0xbf59a7d5, v152 :: v_dual_add_f32 v36, v38, v36
	v_add_f32_e32 v38, v51, v4
	v_fma_f32 v51, 0xbe8c1d8e, v46, -v160
	v_mul_f32_e32 v161, 0x3f7ee86f, v146
	v_mul_f32_e32 v153, 0xbeb8f4ab, v148
	v_dual_mul_f32 v178, 0x3f7ee86f, v137 :: v_dual_add_f32 v167, v168, v167
	v_add_f32_e32 v38, v39, v38
	v_add_f32_e32 v39, v51, v5
	v_fma_f32 v51, 0xbf59a7d5, v55, -v162
	v_mul_f32_e32 v204, 0x3f4c4adb, v130
	v_mul_f32_e32 v177, 0xbf4c4adb, v42
	v_add_f32_e32 v38, v52, v38
	v_fma_f32 v52, 0x3f3d2fb0, v58, -v163
	v_add_f32_e32 v39, v51, v39
	v_add_f32_e32 v51, v53, v36
	v_fma_f32 v53, 0x3f3d2fb0, v95, -v144
	v_add_f32_e32 v38, v54, v38
	v_fmamk_f32 v54, v88, 0x3f6eb680, v153
	v_add_f32_e32 v36, v52, v39
	v_fma_f32 v39, 0x3ee437d1, v63, -v164
	v_fmamk_f32 v52, v68, 0xbf7ba420, v149
	v_mul_f32_e32 v187, 0xbf4c4adb, v43
	v_dual_mul_f32 v172, 0xbeb8f4ab, v155 :: v_dual_mul_f32 v197, 0xbeb8f4ab, v137
	s_delay_alu instid0(VALU_DEP_4) | instskip(NEXT) | instid1(VALU_DEP_4)
	v_add_f32_e32 v36, v39, v36
	v_add_f32_e32 v38, v52, v38
	v_fma_f32 v39, 0xbf7ba420, v69, -v165
	v_fmamk_f32 v52, v75, 0x3dbcf732, v151
	v_fma_f32 v168, 0xbf1a4643, v63, -v204
	v_mul_f32_e32 v181, 0x3f763a35, v116
	v_fma_f32 v87, 0x3f6eb680, v89, -v172
	v_add_f32_e32 v36, v39, v36
	v_add_f32_e32 v38, v52, v38
	v_fma_f32 v39, 0x3dbcf732, v78, -v161
	v_dual_add_f32 v52, v53, v37 :: v_dual_fmamk_f32 v53, v47, 0xbe8c1d8e, v181
	v_dual_mul_f32 v156, 0xbf4c4adb, v158 :: v_dual_add_f32 v167, v168, v167
	s_delay_alu instid0(VALU_DEP_3) | instskip(SKIP_2) | instid1(VALU_DEP_3)
	v_dual_add_f32 v36, v39, v36 :: v_dual_mul_f32 v189, 0x3f763a35, v117
	v_dual_add_f32 v37, v54, v38 :: v_dual_fmamk_f32 v38, v45, 0xbf1a4643, v177
	v_fma_f32 v39, 0xbf1a4643, v46, -v187
	v_dual_mul_f32 v183, 0xbf06c442, v126 :: v_dual_add_f32 v36, v87, v36
	v_fmamk_f32 v87, v94, 0xbf1a4643, v156
	s_delay_alu instid0(VALU_DEP_3) | instskip(SKIP_2) | instid1(VALU_DEP_3)
	v_dual_add_f32 v38, v38, v4 :: v_dual_add_f32 v39, v39, v5
	v_fma_f32 v54, 0xbe8c1d8e, v55, -v189
	v_mul_f32_e32 v190, 0xbeb8f4ab, v123
	v_dual_mul_f32 v185, 0x3f7ee86f, v143 :: v_dual_add_f32 v38, v53, v38
	v_fmamk_f32 v53, v56, 0x3f6eb680, v182
	s_delay_alu instid0(VALU_DEP_4) | instskip(NEXT) | instid1(VALU_DEP_4)
	v_add_f32_e32 v39, v54, v39
	v_fma_f32 v54, 0x3f6eb680, v58, -v190
	v_mul_f32_e32 v180, 0xbe3c28d5, v148
	s_delay_alu instid0(VALU_DEP_4) | instskip(SKIP_1) | instid1(VALU_DEP_4)
	v_dual_mul_f32 v203, 0xbeb8f4ab, v143 :: v_dual_add_f32 v38, v53, v38
	v_fmamk_f32 v53, v61, 0xbf59a7d5, v183
	v_add_f32_e32 v39, v54, v39
	v_fma_f32 v54, 0xbf59a7d5, v63, -v191
	v_mul_f32_e32 v195, 0x3f2c7751, v148
	v_mul_f32_e32 v192, 0x3f65296c, v159
	v_dual_add_f32 v38, v53, v38 :: v_dual_fmamk_f32 v53, v68, 0x3dbcf732, v178
	s_delay_alu instid0(VALU_DEP_4) | instskip(SKIP_4) | instid1(VALU_DEP_4)
	v_add_f32_e32 v39, v54, v39
	v_fma_f32 v54, 0x3dbcf732, v69, -v185
	v_fmamk_f32 v170, v88, 0x3f3d2fb0, v195
	v_mul_f32_e32 v188, 0xbe3c28d5, v155
	v_dual_add_f32 v38, v53, v38 :: v_dual_fmamk_f32 v53, v75, 0x3f3d2fb0, v179
	v_add_f32_e32 v39, v54, v39
	v_fma_f32 v54, 0x3f3d2fb0, v78, -v186
	v_fma_f32 v169, 0x3ee437d1, v95, -v192
	s_delay_alu instid0(VALU_DEP_4) | instskip(SKIP_1) | instid1(VALU_DEP_4)
	v_dual_mul_f32 v201, 0x3f2c7751, v155 :: v_dual_add_f32 v38, v53, v38
	v_fmamk_f32 v53, v88, 0xbf7ba420, v180
	v_add_f32_e32 v39, v54, v39
	v_fma_f32 v54, 0xbf7ba420, v89, -v188
	v_mul_f32_e32 v198, 0x3f4c4adb, v126
	v_mul_f32_e32 v196, 0xbe3c28d5, v145
	v_dual_add_f32 v38, v53, v38 :: v_dual_mul_f32 v205, 0xbf763a35, v159
	s_delay_alu instid0(VALU_DEP_4) | instskip(SKIP_2) | instid1(VALU_DEP_3)
	v_dual_add_f32 v39, v54, v39 :: v_dual_mul_f32 v194, 0x3f65296c, v116
	v_add_f32_e32 v53, v166, v4
	v_fma_f32 v168, 0x3f6eb680, v69, -v203
	v_dual_mul_f32 v202, 0xbe3c28d5, v146 :: v_dual_add_f32 v39, v169, v39
	s_delay_alu instid0(VALU_DEP_4)
	v_fmamk_f32 v54, v47, 0x3ee437d1, v194
	v_mul_f32_e32 v174, 0xbf4c4adb, v159
	s_clause 0x1
	s_load_b64 s[4:5], s[0:1], 0x20
	s_load_b64 s[2:3], s[0:1], 0x8
	global_wb scope:SCOPE_SE
	s_wait_kmcnt 0x0
	s_barrier_signal -1
	v_dual_add_f32 v53, v54, v53 :: v_dual_fmamk_f32 v54, v56, 0x3dbcf732, v200
	v_fma_f32 v157, 0xbf1a4643, v95, -v174
	v_mul_f32_e32 v199, 0xbf763a35, v158
	s_barrier_wait -1
	global_inv scope:SCOPE_SE
	v_dual_add_f32 v53, v54, v53 :: v_dual_fmamk_f32 v54, v61, 0xbf1a4643, v198
	s_delay_alu instid0(VALU_DEP_1) | instskip(NEXT) | instid1(VALU_DEP_1)
	v_dual_add_f32 v53, v54, v53 :: v_dual_fmamk_f32 v54, v68, 0x3f6eb680, v197
	v_dual_add_f32 v53, v54, v53 :: v_dual_fmamk_f32 v54, v75, 0xbf7ba420, v196
	s_delay_alu instid0(VALU_DEP_1) | instskip(SKIP_2) | instid1(VALU_DEP_2)
	v_dual_add_f32 v54, v54, v53 :: v_dual_add_f32 v53, v168, v167
	v_fma_f32 v167, 0xbf7ba420, v78, -v202
	v_fma_f32 v168, 0x3f3d2fb0, v89, -v201
	v_dual_add_f32 v167, v167, v53 :: v_dual_mul_f32 v184, 0x3f65296c, v158
	v_add_f32_e32 v53, v87, v37
	v_dual_add_f32 v37, v170, v54 :: v_dual_add_f32 v54, v157, v36
	s_delay_alu instid0(VALU_DEP_3) | instskip(SKIP_2) | instid1(VALU_DEP_3)
	v_dual_add_f32 v167, v168, v167 :: v_dual_fmamk_f32 v166, v94, 0x3ee437d1, v184
	v_fmamk_f32 v87, v94, 0xbe8c1d8e, v199
	v_fma_f32 v168, 0xbe8c1d8e, v95, -v205
	v_add_f32_e32 v38, v166, v38
	s_delay_alu instid0(VALU_DEP_2)
	v_dual_add_f32 v36, v87, v37 :: v_dual_add_f32 v37, v168, v167
	v_mul_lo_u16 v87, v85, 17
	s_and_saveexec_b32 s0, vcc_lo
	s_cbranch_execz .LBB0_7
; %bb.6:
	v_dual_mul_f32 v167, 0xbe3c28d5, v43 :: v_dual_mul_f32 v168, 0xbe3c28d5, v42
	v_dual_mul_f32 v169, 0x3eb8f4ab, v117 :: v_dual_mul_f32 v116, 0x3eb8f4ab, v116
	;; [unrolled: 1-line block ×3, first 2 shown]
	s_delay_alu instid0(VALU_DEP_3) | instskip(NEXT) | instid1(VALU_DEP_4)
	v_fma_f32 v43, 0xbf7ba420, v45, -v168
	v_fmamk_f32 v42, v46, 0xbf7ba420, v167
	s_delay_alu instid0(VALU_DEP_4)
	v_fma_f32 v123, 0x3f6eb680, v47, -v116
	v_mul_f32_e32 v215, 0xbf59a7d5, v46
	v_dual_mul_f32 v212, 0xbe8c1d8e, v45 :: v_dual_mul_f32 v213, 0xbe8c1d8e, v46
	v_add_f32_e32 v43, v43, v4
	v_dual_mul_f32 v175, 0x3f3d2fb0, v46 :: v_dual_add_f32 v42, v42, v5
	v_fmamk_f32 v214, v58, 0xbf59a7d5, v170
	v_dual_mul_f32 v210, 0x3dbcf732, v45 :: v_dual_mul_f32 v211, 0x3dbcf732, v46
	s_delay_alu instid0(VALU_DEP_4) | instskip(SKIP_4) | instid1(VALU_DEP_4)
	v_add_f32_e32 v43, v123, v43
	v_fmamk_f32 v171, v55, 0x3f6eb680, v169
	v_fma_f32 v123, 0xbf59a7d5, v56, -v117
	v_mul_f32_e32 v122, 0x3f2c7751, v126
	v_dual_mul_f32 v173, 0x3f3d2fb0, v45 :: v_dual_add_f32 v206, v206, v215
	v_add_f32_e32 v42, v171, v42
	v_mul_f32_e32 v171, 0x3f2c7751, v130
	v_add_f32_e32 v43, v123, v43
	v_fma_f32 v130, 0x3f3d2fb0, v61, -v122
	v_add_f32_e32 v138, v138, v211
	v_add_f32_e32 v42, v214, v42
	v_fmamk_f32 v126, v63, 0x3f3d2fb0, v171
	v_dual_mul_f32 v176, 0x3ee437d1, v45 :: v_dual_mul_f32 v209, 0x3ee437d1, v46
	v_add_f32_e32 v43, v130, v43
	s_delay_alu instid0(VALU_DEP_3) | instskip(SKIP_3) | instid1(VALU_DEP_4)
	v_dual_mul_f32 v143, 0xbf4c4adb, v143 :: v_dual_add_f32 v42, v126, v42
	v_mul_f32_e32 v126, 0x3f65296c, v145
	v_add_f32_e32 v138, v138, v5
	v_sub_f32_e32 v128, v210, v128
	v_fmamk_f32 v214, v69, 0xbf1a4643, v143
	v_mul_f32_e32 v123, 0xbf4c4adb, v137
	v_mul_f32_e32 v137, 0x3f65296c, v146
	;; [unrolled: 1-line block ×3, first 2 shown]
	v_dual_mul_f32 v210, 0xbf59a7d5, v95 :: v_dual_add_f32 v77, v77, v209
	v_add_f32_e32 v42, v214, v42
	v_fma_f32 v130, 0xbf1a4643, v68, -v123
	v_dual_sub_f32 v64, v173, v64 :: v_dual_mul_f32 v157, 0x3f6eb680, v45
	v_mul_f32_e32 v166, 0x3f6eb680, v46
	v_add_f32_e32 v6, v6, v4
	s_delay_alu instid0(VALU_DEP_4) | instskip(SKIP_4) | instid1(VALU_DEP_4)
	v_add_f32_e32 v43, v130, v43
	v_fma_f32 v130, 0x3ee437d1, v75, -v126
	v_mul_f32_e32 v214, 0xbf1a4643, v45
	v_add_f32_e32 v64, v64, v4
	v_fmac_f32_e32 v116, 0x3f6eb680, v47
	v_dual_fmac_f32 v122, 0x3f3d2fb0, v61 :: v_dual_add_f32 v43, v130, v43
	v_fmamk_f32 v215, v89, 0xbe8c1d8e, v146
	v_fmamk_f32 v145, v78, 0x3ee437d1, v137
	v_mul_f32_e32 v130, 0xbf763a35, v148
	v_mul_f32_e32 v148, 0x3f7ee86f, v159
	v_dual_fmac_f32 v126, 0x3ee437d1, v75 :: v_dual_add_f32 v77, v77, v5
	s_delay_alu instid0(VALU_DEP_4) | instskip(SKIP_2) | instid1(VALU_DEP_3)
	v_dual_add_f32 v42, v145, v42 :: v_dual_mul_f32 v145, 0x3ee437d1, v55
	v_sub_f32_e32 v177, v214, v177
	v_dual_add_f32 v160, v160, v213 :: v_dual_mul_f32 v211, 0x3dbcf732, v75
	v_dual_mul_f32 v214, 0x3f3d2fb0, v68 :: v_dual_add_f32 v159, v208, v145
	v_mul_f32_e32 v145, 0x3f7ee86f, v158
	v_dual_mul_f32 v155, 0x3dbcf732, v58 :: v_dual_add_f32 v158, v206, v5
	v_dual_fmamk_f32 v206, v95, 0x3dbcf732, v148 :: v_dual_add_f32 v177, v177, v4
	s_delay_alu instid0(VALU_DEP_2) | instskip(SKIP_1) | instid1(VALU_DEP_4)
	v_dual_add_f32 v160, v160, v5 :: v_dual_add_f32 v155, v207, v155
	v_fma_f32 v208, 0xbe8c1d8e, v88, -v130
	v_dual_add_f32 v158, v159, v158 :: v_dual_mul_f32 v207, 0xbf59a7d5, v45
	v_fmac_f32_e32 v130, 0xbe8c1d8e, v88
	v_fmac_f32_e32 v168, 0xbf7ba420, v45
	s_delay_alu instid0(VALU_DEP_4)
	v_add_f32_e32 v208, v208, v43
	v_add_f32_e32 v42, v215, v42
	v_fma_f32 v215, 0x3dbcf732, v94, -v145
	v_mul_f32_e32 v159, 0xbf1a4643, v46
	v_dual_add_f32 v155, v155, v158 :: v_dual_mul_f32 v158, 0x3ee437d1, v47
	v_sub_f32_e32 v193, v207, v193
	v_dual_add_f32 v43, v206, v42 :: v_dual_mul_f32 v206, 0x3f3d2fb0, v47
	v_add_f32_e32 v42, v215, v208
	v_mul_f32_e32 v208, 0xbf1a4643, v63
	v_mul_f32_e32 v207, 0x3f3d2fb0, v55
	v_add_f32_e32 v193, v193, v4
	v_dual_add_f32 v159, v187, v159 :: v_dual_sub_f32 v150, v212, v150
	s_delay_alu instid0(VALU_DEP_4) | instskip(SKIP_2) | instid1(VALU_DEP_4)
	v_add_f32_e32 v204, v204, v208
	v_mul_f32_e32 v208, 0x3f6eb680, v69
	v_sub_f32_e32 v158, v158, v194
	v_dual_mul_f32 v194, 0x3dbcf732, v47 :: v_dual_add_f32 v159, v159, v5
	s_delay_alu instid0(VALU_DEP_4) | instskip(NEXT) | instid1(VALU_DEP_4)
	v_add_f32_e32 v155, v204, v155
	v_add_f32_e32 v203, v203, v208
	v_mul_f32_e32 v204, 0x3dbcf732, v56
	v_dual_add_f32 v158, v158, v193 :: v_dual_mul_f32 v193, 0xbf7ba420, v78
	v_mul_f32_e32 v208, 0x3dbcf732, v55
	s_delay_alu instid0(VALU_DEP_3) | instskip(SKIP_1) | instid1(VALU_DEP_4)
	v_dual_add_f32 v155, v203, v155 :: v_dual_sub_f32 v200, v204, v200
	v_mul_f32_e32 v203, 0xbf1a4643, v61
	v_add_f32_e32 v193, v202, v193
	v_sub_f32_e32 v71, v194, v71
	v_add_f32_e32 v150, v150, v4
	v_add_f32_e32 v158, v200, v158
	s_delay_alu instid0(VALU_DEP_4) | instskip(SKIP_1) | instid1(VALU_DEP_2)
	v_dual_mul_f32 v200, 0x3f3d2fb0, v89 :: v_dual_add_f32 v155, v193, v155
	v_dual_sub_f32 v198, v203, v198 :: v_dual_mul_f32 v193, 0x3f6eb680, v68
	v_dual_mul_f32 v203, 0xbf7ba420, v47 :: v_dual_add_f32 v200, v201, v200
	s_delay_alu instid0(VALU_DEP_2) | instskip(SKIP_1) | instid1(VALU_DEP_4)
	v_dual_mul_f32 v201, 0xbf7ba420, v55 :: v_dual_add_f32 v158, v198, v158
	v_mul_f32_e32 v198, 0xbe8c1d8e, v95
	v_dual_mul_f32 v204, 0xbf1a4643, v47 :: v_dual_sub_f32 v193, v193, v197
	v_mul_f32_e32 v197, 0xbf59a7d5, v47
	s_delay_alu instid0(VALU_DEP_3) | instskip(NEXT) | instid1(VALU_DEP_3)
	v_dual_add_f32 v155, v200, v155 :: v_dual_add_f32 v198, v205, v198
	v_dual_mul_f32 v205, 0xbf7ba420, v75 :: v_dual_add_f32 v158, v193, v158
	v_mul_f32_e32 v193, 0xbe8c1d8e, v55
	v_mul_f32_e32 v200, 0xbf59a7d5, v55
	v_sub_f32_e32 v152, v197, v152
	s_delay_alu instid0(VALU_DEP_4) | instskip(NEXT) | instid1(VALU_DEP_4)
	v_sub_f32_e32 v196, v205, v196
	v_dual_mul_f32 v202, 0xbf1a4643, v55 :: v_dual_add_f32 v189, v189, v193
	s_delay_alu instid0(VALU_DEP_4) | instskip(SKIP_1) | instid1(VALU_DEP_4)
	v_add_f32_e32 v162, v162, v200
	v_mul_f32_e32 v200, 0x3f6eb680, v63
	v_dual_add_f32 v158, v196, v158 :: v_dual_mul_f32 v205, 0x3f3d2fb0, v88
	s_delay_alu instid0(VALU_DEP_4) | instskip(NEXT) | instid1(VALU_DEP_4)
	v_dual_mul_f32 v196, 0x3f6eb680, v58 :: v_dual_add_f32 v159, v189, v159
	v_dual_mul_f32 v189, 0xbe8c1d8e, v94 :: v_dual_add_f32 v160, v162, v160
	s_delay_alu instid0(VALU_DEP_3) | instskip(NEXT) | instid1(VALU_DEP_3)
	v_sub_f32_e32 v195, v205, v195
	v_dual_mul_f32 v187, 0xbe8c1d8e, v47 :: v_dual_add_f32 v190, v190, v196
	v_mul_f32_e32 v196, 0xbf1a4643, v56
	s_delay_alu instid0(VALU_DEP_3) | instskip(NEXT) | instid1(VALU_DEP_3)
	v_dual_mul_f32 v193, 0x3ee437d1, v56 :: v_dual_add_f32 v158, v195, v158
	v_dual_sub_f32 v181, v187, v181 :: v_dual_add_f32 v190, v190, v159
	v_sub_f32_e32 v189, v189, v199
	v_mul_f32_e32 v195, 0xbf59a7d5, v63
	v_dual_add_f32 v159, v198, v155 :: v_dual_mul_f32 v198, 0x3f3d2fb0, v56
	s_delay_alu instid0(VALU_DEP_4) | instskip(NEXT) | instid1(VALU_DEP_3)
	v_add_f32_e32 v177, v181, v177
	v_dual_add_f32 v158, v189, v158 :: v_dual_add_f32 v191, v191, v195
	v_mul_f32_e32 v189, 0x3dbcf732, v69
	v_mul_f32_e32 v199, 0xbf1a4643, v58
	;; [unrolled: 1-line block ×3, first 2 shown]
	v_dual_mul_f32 v181, 0xbf7ba420, v89 :: v_dual_mul_f32 v162, 0xbf7ba420, v88
	s_delay_alu instid0(VALU_DEP_4) | instskip(SKIP_2) | instid1(VALU_DEP_4)
	v_dual_add_f32 v190, v191, v190 :: v_dual_add_f32 v185, v185, v189
	v_mul_f32_e32 v189, 0x3f3d2fb0, v78
	v_mul_f32_e32 v191, 0xbe8c1d8e, v58
	v_add_f32_e32 v181, v188, v181
	v_add_f32_e32 v163, v163, v187
	v_dual_add_f32 v185, v185, v190 :: v_dual_mul_f32 v190, 0x3f6eb680, v56
	v_mul_f32_e32 v215, 0xbf7ba420, v56
	v_sub_f32_e32 v162, v162, v180
	v_mul_f32_e32 v180, 0xbf59a7d5, v68
	v_add_f32_e32 v160, v163, v160
	v_sub_f32_e32 v182, v190, v182
	v_mul_f32_e32 v163, 0x3ee437d1, v94
	v_dual_mul_f32 v213, 0x3f6eb680, v61 :: v_dual_sub_f32 v154, v198, v154
	v_mul_f32_e32 v197, 0xbf1a4643, v78
	s_delay_alu instid0(VALU_DEP_4) | instskip(SKIP_3) | instid1(VALU_DEP_4)
	v_dual_add_f32 v177, v182, v177 :: v_dual_mul_f32 v182, 0x3ee437d1, v95
	v_mul_f32_e32 v155, 0xbe8c1d8e, v56
	v_sub_f32_e32 v184, v163, v184
	v_dual_mul_f32 v198, 0x3f6eb680, v75 :: v_dual_add_f32 v139, v139, v201
	v_add_f32_e32 v182, v192, v182
	v_mul_f32_e32 v192, 0x3dbcf732, v68
	v_add_f32_e32 v140, v140, v191
	v_dual_sub_f32 v132, v203, v132 :: v_dual_mul_f32 v203, 0x3f3d2fb0, v94
	v_dual_add_f32 v212, v128, v4 :: v_dual_sub_f32 v125, v155, v125
	s_delay_alu instid0(VALU_DEP_4) | instskip(SKIP_3) | instid1(VALU_DEP_3)
	v_sub_f32_e32 v178, v192, v178
	v_mul_f32_e32 v192, 0x3f3d2fb0, v75
	v_dual_mul_f32 v205, 0x3ee437d1, v58 :: v_dual_add_f32 v186, v186, v189
	v_dual_mul_f32 v189, 0x3dbcf732, v61 :: v_dual_add_f32 v150, v152, v150
	v_sub_f32_e32 v179, v192, v179
	s_delay_alu instid0(VALU_DEP_3) | instskip(SKIP_3) | instid1(VALU_DEP_4)
	v_dual_mul_f32 v192, 0x3ee437d1, v63 :: v_dual_add_f32 v185, v186, v185
	v_mul_f32_e32 v186, 0xbf59a7d5, v61
	v_mul_f32_e32 v152, 0xbf1a4643, v95
	v_add_f32_e32 v150, v154, v150
	v_dual_add_f32 v164, v164, v192 :: v_dual_add_f32 v181, v181, v185
	s_delay_alu instid0(VALU_DEP_4) | instskip(SKIP_2) | instid1(VALU_DEP_4)
	v_sub_f32_e32 v183, v186, v183
	v_mul_f32_e32 v185, 0xbe8c1d8e, v61
	v_mul_f32_e32 v192, 0xbf59a7d5, v69
	v_dual_add_f32 v160, v164, v160 :: v_dual_add_f32 v163, v182, v181
	s_delay_alu instid0(VALU_DEP_4) | instskip(SKIP_2) | instid1(VALU_DEP_3)
	v_dual_add_f32 v177, v183, v177 :: v_dual_mul_f32 v182, 0x3dbcf732, v78
	v_dual_mul_f32 v181, 0x3ee437d1, v69 :: v_dual_add_f32 v152, v174, v152
	v_mul_f32_e32 v201, 0xbf59a7d5, v89
	v_add_f32_e32 v177, v178, v177
	s_delay_alu instid0(VALU_DEP_4) | instskip(SKIP_2) | instid1(VALU_DEP_4)
	v_dual_add_f32 v161, v161, v182 :: v_dual_mul_f32 v182, 0x3f6eb680, v89
	v_mul_f32_e32 v178, 0x3ee437d1, v61
	v_mul_f32_e32 v191, 0x3dbcf732, v89
	v_add_f32_e32 v177, v179, v177
	s_delay_alu instid0(VALU_DEP_4) | instskip(NEXT) | instid1(VALU_DEP_4)
	v_dual_mul_f32 v183, 0xbe8c1d8e, v63 :: v_dual_add_f32 v172, v172, v182
	v_dual_sub_f32 v147, v178, v147 :: v_dual_mul_f32 v178, 0xbf59a7d5, v88
	s_delay_alu instid0(VALU_DEP_3) | instskip(SKIP_3) | instid1(VALU_DEP_4)
	v_dual_sub_f32 v151, v211, v151 :: v_dual_add_f32 v162, v162, v177
	v_mul_f32_e32 v177, 0xbf7ba420, v69
	v_mul_f32_e32 v187, 0xbe8c1d8e, v68
	;; [unrolled: 1-line block ×3, first 2 shown]
	v_dual_add_f32 v141, v141, v200 :: v_dual_add_f32 v162, v184, v162
	s_delay_alu instid0(VALU_DEP_4) | instskip(SKIP_3) | instid1(VALU_DEP_4)
	v_dual_add_f32 v165, v165, v177 :: v_dual_mul_f32 v184, 0xbf1a4643, v75
	v_mul_f32_e32 v179, 0xbe8c1d8e, v69
	v_mul_f32_e32 v177, 0x3ee437d1, v68
	v_dual_mul_f32 v195, 0xbf7ba420, v58 :: v_dual_mul_f32 v188, 0xbf7ba420, v61
	v_add_f32_e32 v160, v165, v160
	v_dual_mul_f32 v165, 0xbf7ba420, v68 :: v_dual_add_f32 v142, v142, v181
	v_dual_mul_f32 v181, 0xbf59a7d5, v94 :: v_dual_add_f32 v132, v132, v212
	s_delay_alu instid0(VALU_DEP_3) | instskip(NEXT) | instid1(VALU_DEP_3)
	v_add_f32_e32 v160, v161, v160
	v_sub_f32_e32 v149, v165, v149
	v_mul_f32_e32 v165, 0x3ee437d1, v89
	v_dual_mul_f32 v174, 0xbf59a7d5, v75 :: v_dual_add_f32 v147, v147, v150
	s_delay_alu instid0(VALU_DEP_4)
	v_add_f32_e32 v160, v172, v160
	v_mul_f32_e32 v172, 0x3f6eb680, v78
	v_mul_f32_e32 v154, 0xbf59a7d5, v78
	v_dual_add_f32 v90, v90, v202 :: v_dual_add_f32 v125, v125, v132
	v_add_f32_e32 v147, v149, v147
	v_dual_mul_f32 v149, 0xbf1a4643, v88 :: v_dual_add_f32 v138, v139, v138
	v_mul_f32_e32 v150, 0x3ee437d1, v88
	v_mul_f32_e32 v209, 0x3f3d2fb0, v95
	s_delay_alu instid0(VALU_DEP_4) | instskip(NEXT) | instid1(VALU_DEP_4)
	v_dual_add_f32 v147, v151, v147 :: v_dual_mul_f32 v202, 0xbf1a4643, v94
	v_dual_add_f32 v77, v90, v77 :: v_dual_add_f32 v138, v140, v138
	v_dual_mul_f32 v140, 0x3f6eb680, v88 :: v_dual_sub_f32 v127, v213, v127
	v_add_f32_e32 v90, v100, v195
	v_mul_f32_e32 v164, 0x3f3d2fb0, v69
	s_delay_alu instid0(VALU_DEP_4) | instskip(NEXT) | instid1(VALU_DEP_4)
	v_add_f32_e32 v138, v141, v138
	v_dual_sub_f32 v140, v140, v153 :: v_dual_mul_f32 v141, 0x3f6eb680, v95
	v_dual_add_f32 v128, v152, v160 :: v_dual_add_f32 v135, v135, v154
	s_delay_alu instid0(VALU_DEP_3) | instskip(NEXT) | instid1(VALU_DEP_3)
	v_add_f32_e32 v138, v142, v138
	v_dual_add_f32 v100, v140, v147 :: v_dual_add_f32 v125, v127, v125
	v_sub_f32_e32 v127, v177, v129
	v_add_f32_e32 v77, v90, v77
	v_add_f32_e32 v90, v118, v183
	v_dual_add_f32 v132, v135, v138 :: v_dual_sub_f32 v129, v202, v156
	v_add_f32_e32 v118, v136, v211
	s_delay_alu instid0(VALU_DEP_3) | instskip(SKIP_4) | instid1(VALU_DEP_4)
	v_dual_add_f32 v120, v120, v172 :: v_dual_add_f32 v77, v90, v77
	v_add_f32_e32 v90, v119, v164
	v_add_f32_e32 v119, v127, v125
	v_sub_f32_e32 v125, v174, v131
	v_dual_add_f32 v118, v118, v132 :: v_dual_add_f32 v131, v144, v209
	v_dual_add_f32 v90, v90, v77 :: v_dual_add_f32 v127, v129, v100
	s_delay_alu instid0(VALU_DEP_3) | instskip(SKIP_1) | instid1(VALU_DEP_4)
	v_add_f32_e32 v100, v125, v119
	v_sub_f32_e32 v119, v149, v133
	v_add_f32_e32 v77, v131, v118
	s_delay_alu instid0(VALU_DEP_4) | instskip(SKIP_3) | instid1(VALU_DEP_4)
	v_dual_add_f32 v90, v120, v90 :: v_dual_add_f32 v67, v67, v175
	v_add_f32_e32 v118, v121, v191
	v_dual_sub_f32 v76, v204, v76 :: v_dual_mul_f32 v161, 0xbe8c1d8e, v75
	v_mul_f32_e32 v182, 0xbe8c1d8e, v78
	v_dual_sub_f32 v70, v176, v70 :: v_dual_add_f32 v67, v67, v5
	v_add_f32_e32 v74, v74, v208
	v_add_f32_e32 v100, v119, v100
	v_sub_f32_e32 v119, v203, v134
	v_add_f32_e32 v90, v118, v90
	v_dual_add_f32 v64, v71, v64 :: v_dual_sub_f32 v71, v196, v79
	v_sub_f32_e32 v79, v150, v107
	v_mul_f32_e32 v190, 0x3dbcf732, v63
	v_add_f32_e32 v70, v70, v4
	v_mul_f32_e32 v186, 0xbf7ba420, v63
	v_add_f32_e32 v64, v71, v64
	v_sub_f32_e32 v71, v188, v96
	v_dual_sub_f32 v57, v157, v57 :: v_dual_sub_f32 v60, v206, v60
	v_add_f32_e32 v7, v7, v5
	v_mul_f32_e32 v139, 0x3dbcf732, v88
	s_delay_alu instid0(VALU_DEP_4) | instskip(NEXT) | instid1(VALU_DEP_4)
	v_dual_add_f32 v64, v71, v64 :: v_dual_sub_f32 v71, v180, v101
	v_dual_add_f32 v57, v57, v4 :: v_dual_mul_f32 v200, 0xbf7ba420, v94
	v_mul_f32_e32 v151, 0xbf7ba420, v95
	s_delay_alu instid0(VALU_DEP_3) | instskip(SKIP_4) | instid1(VALU_DEP_4)
	v_dual_add_f32 v7, v25, v7 :: v_dual_add_f32 v64, v71, v64
	v_sub_f32_e32 v71, v161, v105
	v_add_f32_e32 v67, v74, v67
	v_dual_add_f32 v74, v81, v199 :: v_dual_add_f32 v81, v59, v166
	v_add_f32_e32 v118, v124, v210
	v_dual_add_f32 v64, v71, v64 :: v_dual_add_f32 v57, v60, v57
	s_delay_alu instid0(VALU_DEP_3) | instskip(SKIP_1) | instid1(VALU_DEP_4)
	v_add_f32_e32 v67, v74, v67
	v_add_f32_e32 v74, v98, v186
	v_dual_add_f32 v71, v118, v90 :: v_dual_sub_f32 v60, v193, v65
	v_dual_add_f32 v6, v24, v6 :: v_dual_add_f32 v7, v27, v7
	s_delay_alu instid0(VALU_DEP_3) | instskip(SKIP_4) | instid1(VALU_DEP_4)
	v_add_f32_e32 v67, v74, v67
	v_add_f32_e32 v74, v102, v192
	;; [unrolled: 1-line block ×3, first 2 shown]
	v_dual_sub_f32 v76, v215, v91 :: v_dual_add_f32 v27, v60, v57
	v_add_f32_e32 v6, v26, v6
	v_add_f32_e32 v67, v74, v67
	;; [unrolled: 1-line block ×3, first 2 shown]
	v_sub_f32_e32 v26, v189, v72
	v_add_f32_e32 v62, v62, v207
	v_add_f32_e32 v7, v33, v7
	;; [unrolled: 1-line block ×3, first 2 shown]
	v_dual_add_f32 v67, v74, v67 :: v_dual_add_f32 v74, v108, v165
	v_add_f32_e32 v70, v76, v70
	v_sub_f32_e32 v76, v185, v111
	v_dual_add_f32 v26, v26, v27 :: v_dual_fmac_f32 v117, 0xbf59a7d5, v56
	s_delay_alu instid0(VALU_DEP_4) | instskip(SKIP_1) | instid1(VALU_DEP_4)
	v_add_f32_e32 v67, v74, v67
	v_add_f32_e32 v74, v110, v141
	;; [unrolled: 1-line block ×3, first 2 shown]
	v_sub_f32_e32 v76, v214, v112
	v_sub_f32_e32 v27, v187, v80
	v_add_f32_e32 v7, v35, v7
	v_add_f32_e32 v59, v74, v67
	s_delay_alu instid0(VALU_DEP_4) | instskip(SKIP_2) | instid1(VALU_DEP_3)
	v_dual_add_f32 v67, v81, v5 :: v_dual_add_f32 v70, v76, v70
	v_sub_f32_e32 v76, v198, v113
	v_dual_add_f32 v26, v27, v26 :: v_dual_sub_f32 v27, v184, v92
	v_add_f32_e32 v62, v62, v67
	s_delay_alu instid0(VALU_DEP_3) | instskip(SKIP_2) | instid1(VALU_DEP_4)
	v_dual_add_f32 v7, v29, v7 :: v_dual_add_f32 v70, v76, v70
	v_sub_f32_e32 v76, v139, v114
	v_dual_add_f32 v4, v168, v4 :: v_dual_fmac_f32 v145, 0x3dbcf732, v94
	v_add_f32_e32 v24, v25, v62
	v_add_f32_e32 v25, v73, v190
	s_delay_alu instid0(VALU_DEP_4) | instskip(SKIP_2) | instid1(VALU_DEP_4)
	v_add_f32_e32 v70, v76, v70
	v_sub_f32_e32 v76, v181, v115
	v_dual_add_f32 v7, v31, v7 :: v_dual_add_f32 v4, v116, v4
	v_dual_add_f32 v24, v25, v24 :: v_dual_add_f32 v25, v82, v179
	s_delay_alu instid0(VALU_DEP_2) | instskip(NEXT) | instid1(VALU_DEP_3)
	v_dual_add_f32 v70, v76, v70 :: v_dual_add_f32 v7, v21, v7
	v_add_f32_e32 v4, v117, v4
	v_fmac_f32_e32 v123, 0xbf1a4643, v68
	s_delay_alu instid0(VALU_DEP_4) | instskip(SKIP_1) | instid1(VALU_DEP_4)
	v_add_f32_e32 v24, v25, v24
	v_dual_add_f32 v25, v93, v197 :: v_dual_add_f32 v64, v79, v64
	v_dual_add_f32 v23, v23, v7 :: v_dual_add_f32 v4, v122, v4
	v_sub_f32_e32 v21, v178, v97
	v_dual_mul_f32 v153, 0x3f6eb680, v94 :: v_dual_add_f32 v76, v119, v100
	s_delay_alu instid0(VALU_DEP_3) | instskip(SKIP_2) | instid1(VALU_DEP_4)
	v_add_f32_e32 v17, v17, v23
	v_fma_f32 v23, 0xbf7ba420, v46, -v167
	v_add_f32_e32 v4, v123, v4
	v_sub_f32_e32 v74, v153, v109
	s_delay_alu instid0(VALU_DEP_4) | instskip(NEXT) | instid1(VALU_DEP_4)
	v_dual_add_f32 v17, v19, v17 :: v_dual_add_f32 v6, v32, v6
	v_add_f32_e32 v5, v23, v5
	v_fma_f32 v19, 0x3f6eb680, v55, -v169
	s_delay_alu instid0(VALU_DEP_3) | instskip(SKIP_1) | instid1(VALU_DEP_3)
	v_add_f32_e32 v13, v13, v17
	v_fma_f32 v17, 0xbf59a7d5, v58, -v170
	v_dual_add_f32 v5, v19, v5 :: v_dual_add_f32 v6, v34, v6
	s_delay_alu instid0(VALU_DEP_3) | instskip(SKIP_1) | instid1(VALU_DEP_3)
	v_add_f32_e32 v13, v15, v13
	v_fma_f32 v15, 0x3f3d2fb0, v63, -v171
	v_dual_add_f32 v5, v17, v5 :: v_dual_add_f32 v6, v28, v6
	;; [unrolled: 4-line block ×3, first 2 shown]
	s_delay_alu instid0(VALU_DEP_3) | instskip(SKIP_2) | instid1(VALU_DEP_3)
	v_dual_add_f32 v6, v30, v6 :: v_dual_add_f32 v9, v11, v9
	v_add_f32_e32 v26, v27, v26
	v_add_f32_e32 v25, v99, v201
	v_dual_add_f32 v11, v13, v5 :: v_dual_add_f32 v6, v20, v6
	s_delay_alu instid0(VALU_DEP_4) | instskip(NEXT) | instid1(VALU_DEP_4)
	v_add_f32_e32 v5, v41, v9
	v_dual_add_f32 v20, v21, v26 :: v_dual_sub_f32 v21, v200, v103
	s_delay_alu instid0(VALU_DEP_3) | instskip(NEXT) | instid1(VALU_DEP_1)
	v_add_f32_e32 v22, v22, v6
	v_add_f32_e32 v16, v16, v22
	s_delay_alu instid0(VALU_DEP_1) | instskip(NEXT) | instid1(VALU_DEP_1)
	v_add_f32_e32 v16, v18, v16
	v_add_f32_e32 v12, v12, v16
	s_delay_alu instid0(VALU_DEP_1) | instskip(NEXT) | instid1(VALU_DEP_1)
	v_add_f32_e32 v12, v14, v12
	v_add_f32_e32 v8, v8, v12
	v_fma_f32 v12, 0x3ee437d1, v78, -v137
	v_dual_add_f32 v24, v25, v24 :: v_dual_add_f32 v25, v104, v151
	v_add_f32_e32 v58, v74, v64
	s_delay_alu instid0(VALU_DEP_3) | instskip(SKIP_3) | instid1(VALU_DEP_4)
	v_dual_add_f32 v8, v10, v8 :: v_dual_add_f32 v9, v12, v11
	v_fma_f32 v10, 0xbe8c1d8e, v89, -v146
	v_add_f32_e32 v11, v126, v4
	v_add_f32_e32 v6, v21, v20
	;; [unrolled: 1-line block ×3, first 2 shown]
	s_delay_alu instid0(VALU_DEP_4) | instskip(SKIP_3) | instid1(VALU_DEP_4)
	v_dual_add_f32 v9, v10, v9 :: v_dual_and_b32 v8, 0xffff, v87
	v_fma_f32 v10, 0x3dbcf732, v95, -v148
	v_add_f32_e32 v11, v130, v11
	v_add_f32_e32 v7, v25, v24
	v_add_lshl_u32 v12, v44, v8, 3
	s_delay_alu instid0(VALU_DEP_3)
	v_dual_add_f32 v9, v10, v9 :: v_dual_add_f32 v8, v145, v11
	ds_store_2addr_b64 v12, v[4:5], v[6:7] offset1:1
	ds_store_2addr_b64 v12, v[58:59], v[70:71] offset0:2 offset1:3
	ds_store_2addr_b64 v12, v[76:77], v[127:128] offset0:4 offset1:5
	;; [unrolled: 1-line block ×7, first 2 shown]
	ds_store_b64 v12, v[2:3] offset:128
.LBB0_7:
	s_wait_alu 0xfffe
	s_or_b32 exec_lo, exec_lo, s0
	v_add_lshl_u32 v89, v44, v85, 3
	global_wb scope:SCOPE_SE
	s_wait_dscnt 0x0
	s_barrier_signal -1
	s_barrier_wait -1
	global_inv scope:SCOPE_SE
	v_add_nc_u32_e32 v16, 0x800, v89
	ds_load_2addr_b64 v[12:15], v89 offset1:34
	ds_load_2addr_b64 v[4:7], v89 offset0:136 offset1:187
	ds_load_2addr_b64 v[20:23], v89 offset0:221 offset1:255
	;; [unrolled: 1-line block ×4, first 2 shown]
	v_cmp_gt_u16_e64 s0, 17, v85
	s_delay_alu instid0(VALU_DEP_1)
	s_and_saveexec_b32 s1, s0
	s_cbranch_execz .LBB0_9
; %bb.8:
	v_add_nc_u32_e32 v24, 0x400, v89
	ds_load_2addr_b64 v[36:39], v24 offset0:42 offset1:229
.LBB0_9:
	s_wait_alu 0xfffe
	s_or_b32 exec_lo, exec_lo, s1
	v_add_co_u32 v24, s1, 0xffffffef, v85
	s_wait_alu 0xf1ff
	v_add_co_ci_u32_e64 v25, null, 0, -1, s1
	v_add_nc_u16 v27, v85, 34
	s_delay_alu instid0(VALU_DEP_3) | instskip(SKIP_1) | instid1(VALU_DEP_4)
	v_cndmask_b32_e64 v24, v24, v85, s0
	v_add_nc_u16 v29, v85, 0x66
	v_cndmask_b32_e64 v25, v25, 0, s0
	v_add_nc_u16 v28, v85, 0x44
	v_add_nc_u16 v30, v85, 0x88
	;; [unrolled: 1-line block ×3, first 2 shown]
	s_delay_alu instid0(VALU_DEP_4) | instskip(NEXT) | instid1(VALU_DEP_4)
	v_lshlrev_b64_e32 v[25:26], 3, v[24:25]
	v_and_b32_e32 v32, 0xff, v28
	s_delay_alu instid0(VALU_DEP_1) | instskip(NEXT) | instid1(VALU_DEP_3)
	v_mul_lo_u16 v32, 0xf1, v32
	v_add_co_u32 v25, s1, s2, v25
	s_wait_alu 0xf1ff
	s_delay_alu instid0(VALU_DEP_4) | instskip(NEXT) | instid1(VALU_DEP_3)
	v_add_co_ci_u32_e64 v26, s1, s3, v26, s1
	v_lshrrev_b16 v32, 12, v32
	v_cmp_lt_u16_e64 s1, 16, v85
	global_load_b64 v[59:60], v[25:26], off
	v_and_b32_e32 v31, 0xff, v27
	v_and_b32_e32 v34, 0xff, v29
	;; [unrolled: 1-line block ×3, first 2 shown]
	v_mul_lo_u16 v42, v32, 17
	s_delay_alu instid0(VALU_DEP_4) | instskip(NEXT) | instid1(VALU_DEP_4)
	v_mul_lo_u16 v31, 0xf1, v31
	v_mul_lo_u16 v34, 0xf1, v34
	s_delay_alu instid0(VALU_DEP_4) | instskip(NEXT) | instid1(VALU_DEP_4)
	v_mul_lo_u16 v35, 0xf1, v35
	v_sub_nc_u16 v28, v28, v42
	s_delay_alu instid0(VALU_DEP_4) | instskip(NEXT) | instid1(VALU_DEP_4)
	v_lshrrev_b16 v31, 12, v31
	v_lshrrev_b16 v34, 12, v34
	s_delay_alu instid0(VALU_DEP_4) | instskip(NEXT) | instid1(VALU_DEP_4)
	v_lshrrev_b16 v35, 12, v35
	v_and_b32_e32 v28, 0xff, v28
	s_delay_alu instid0(VALU_DEP_4) | instskip(NEXT) | instid1(VALU_DEP_4)
	v_mul_lo_u16 v41, v31, 17
	v_mul_lo_u16 v25, v34, 17
	s_delay_alu instid0(VALU_DEP_2) | instskip(NEXT) | instid1(VALU_DEP_2)
	v_sub_nc_u16 v26, v27, v41
	v_sub_nc_u16 v25, v29, v25
	v_mul_lo_u16 v27, v35, 17
	s_delay_alu instid0(VALU_DEP_3) | instskip(NEXT) | instid1(VALU_DEP_3)
	v_and_b32_e32 v29, 0xff, v26
	v_and_b32_e32 v25, 0xff, v25
	s_delay_alu instid0(VALU_DEP_3) | instskip(SKIP_1) | instid1(VALU_DEP_4)
	v_sub_nc_u16 v27, v30, v27
	v_mad_u16 v26, v31, 34, v26
	v_lshlrev_b32_e32 v29, 3, v29
	s_delay_alu instid0(VALU_DEP_3) | instskip(SKIP_2) | instid1(VALU_DEP_1)
	v_and_b32_e32 v27, 0xff, v27
	global_load_b64 v[65:66], v29, s[2:3]
	v_and_b32_e32 v40, 0xff, v33
	v_mul_lo_u16 v40, 0xf1, v40
	s_delay_alu instid0(VALU_DEP_1) | instskip(NEXT) | instid1(VALU_DEP_1)
	v_lshrrev_b16 v40, 12, v40
	v_mul_lo_u16 v40, v40, 17
	s_delay_alu instid0(VALU_DEP_1)
	v_sub_nc_u16 v30, v33, v40
	v_lshlrev_b32_e32 v33, 3, v28
	global_load_b64 v[63:64], v33, s[2:3]
	v_and_b32_e32 v90, 0xff, v30
	v_lshlrev_b32_e32 v30, 3, v25
	v_lshlrev_b32_e32 v29, 3, v27
	s_delay_alu instid0(VALU_DEP_3)
	v_lshlrev_b32_e32 v33, 3, v90
	s_clause 0x2
	global_load_b64 v[61:62], v30, s[2:3]
	global_load_b64 v[57:58], v29, s[2:3]
	;; [unrolled: 1-line block ×3, first 2 shown]
	s_wait_alu 0xf1ff
	v_cndmask_b32_e64 v29, 0, 34, s1
	v_and_b32_e32 v30, 0xffff, v32
	v_and_b32_e32 v32, 0xffff, v34
	s_load_b128 s[4:7], s[4:5], 0x0
	global_wb scope:SCOPE_SE
	s_wait_loadcnt_dscnt 0x0
	v_add_nc_u32_e32 v24, v24, v29
	v_and_b32_e32 v29, 0xffff, v35
	v_mul_u32_u24_e32 v30, 34, v30
	s_wait_kmcnt 0x0
	s_barrier_signal -1
	s_barrier_wait -1
	v_add_lshl_u32 v92, v44, v24, 3
	v_mul_u32_u24_e32 v24, 34, v29
	v_add_nc_u32_e32 v28, v30, v28
	global_inv scope:SCOPE_SE
	v_mul_f32_e32 v29, v7, v60
	v_mul_f32_e32 v30, v6, v60
	s_delay_alu instid0(VALU_DEP_2) | instskip(NEXT) | instid1(VALU_DEP_2)
	v_fma_f32 v6, v6, v59, -v29
	v_fmac_f32_e32 v30, v7, v59
	s_delay_alu instid0(VALU_DEP_2) | instskip(NEXT) | instid1(VALU_DEP_2)
	v_sub_f32_e32 v6, v12, v6
	v_sub_f32_e32 v7, v13, v30
	s_delay_alu instid0(VALU_DEP_2) | instskip(NEXT) | instid1(VALU_DEP_2)
	v_fma_f32 v12, v12, 2.0, -v6
	v_fma_f32 v13, v13, 2.0, -v7
	ds_store_2addr_b64 v92, v[12:13], v[6:7] offset1:17
	v_mul_f32_e32 v29, v16, v62
	v_dual_mul_f32 v33, v38, v56 :: v_dual_and_b32 v26, 0xff, v26
	v_mul_u32_u24_e32 v31, 34, v32
	s_delay_alu instid0(VALU_DEP_3) | instskip(NEXT) | instid1(VALU_DEP_3)
	v_dual_mul_f32 v30, v19, v58 :: v_dual_fmac_f32 v29, v17, v61
	v_add_lshl_u32 v95, v44, v26, 3
	v_mul_f32_e32 v26, v23, v64
	s_delay_alu instid0(VALU_DEP_4) | instskip(SKIP_2) | instid1(VALU_DEP_4)
	v_add_nc_u32_e32 v25, v31, v25
	v_dual_mul_f32 v31, v18, v58 :: v_dual_mul_f32 v32, v39, v56
	v_fma_f32 v18, v18, v57, -v30
	v_fma_f32 v12, v22, v63, -v26
	v_fmac_f32_e32 v33, v39, v55
	s_delay_alu instid0(VALU_DEP_4)
	v_fmac_f32_e32 v31, v19, v57
	v_add_lshl_u32 v94, v44, v28, 3
	v_sub_f32_e32 v18, v4, v18
	v_mul_f32_e32 v28, v17, v62
	v_dual_sub_f32 v12, v8, v12 :: v_dual_sub_f32 v17, v11, v29
	v_sub_f32_e32 v19, v5, v31
	s_delay_alu instid0(VALU_DEP_4) | instskip(NEXT) | instid1(VALU_DEP_4)
	v_fma_f32 v4, v4, 2.0, -v18
	v_fma_f32 v16, v16, v61, -v28
	s_delay_alu instid0(VALU_DEP_4) | instskip(SKIP_2) | instid1(VALU_DEP_4)
	v_fma_f32 v8, v8, 2.0, -v12
	v_fma_f32 v11, v11, 2.0, -v17
	v_fma_f32 v5, v5, 2.0, -v19
	v_sub_f32_e32 v16, v10, v16
	v_add_lshl_u32 v93, v44, v25, 3
	v_mul_f32_e32 v25, v20, v66
	s_delay_alu instid0(VALU_DEP_3) | instskip(NEXT) | instid1(VALU_DEP_2)
	v_fma_f32 v10, v10, 2.0, -v16
	v_dual_fmac_f32 v25, v21, v65 :: v_dual_add_nc_u32 v24, v24, v27
	v_mul_f32_e32 v27, v22, v64
	s_delay_alu instid0(VALU_DEP_2) | instskip(NEXT) | instid1(VALU_DEP_3)
	v_sub_f32_e32 v7, v15, v25
	v_add_lshl_u32 v91, v44, v24, 3
	s_delay_alu instid0(VALU_DEP_3) | instskip(SKIP_1) | instid1(VALU_DEP_4)
	v_dual_mul_f32 v24, v21, v66 :: v_dual_fmac_f32 v27, v23, v63
	v_sub_f32_e32 v25, v37, v33
	v_fma_f32 v15, v15, 2.0, -v7
	s_delay_alu instid0(VALU_DEP_3) | instskip(SKIP_1) | instid1(VALU_DEP_2)
	v_fma_f32 v6, v20, v65, -v24
	v_fma_f32 v20, v38, v55, -v32
	v_dual_sub_f32 v13, v9, v27 :: v_dual_sub_f32 v6, v14, v6
	s_delay_alu instid0(VALU_DEP_2) | instskip(NEXT) | instid1(VALU_DEP_2)
	v_sub_f32_e32 v24, v36, v20
	v_fma_f32 v9, v9, 2.0, -v13
	s_delay_alu instid0(VALU_DEP_3)
	v_fma_f32 v14, v14, 2.0, -v6
	ds_store_2addr_b64 v95, v[14:15], v[6:7] offset1:17
	ds_store_2addr_b64 v94, v[8:9], v[12:13] offset1:17
	;; [unrolled: 1-line block ×4, first 2 shown]
	s_and_saveexec_b32 s1, s0
	s_cbranch_execz .LBB0_11
; %bb.10:
	v_add_lshl_u32 v6, v44, v90, 3
	v_fma_f32 v5, v37, 2.0, -v25
	v_fma_f32 v4, v36, 2.0, -v24
	s_delay_alu instid0(VALU_DEP_3)
	v_add_nc_u32_e32 v6, 0x800, v6
	ds_store_2addr_b64 v6, v[4:5], v[24:25] offset0:84 offset1:101
.LBB0_11:
	s_wait_alu 0xfffe
	s_or_b32 exec_lo, exec_lo, s1
	v_mad_co_u64_u32 v[12:13], null, 0x50, v85, s[2:3]
	global_wb scope:SCOPE_SE
	s_wait_dscnt 0x0
	s_barrier_signal -1
	s_barrier_wait -1
	global_inv scope:SCOPE_SE
	v_lshl_add_u32 v88, v85, 3, v86
	s_clause 0x4
	global_load_b128 v[20:23], v[12:13], off offset:136
	global_load_b128 v[16:19], v[12:13], off offset:152
	;; [unrolled: 1-line block ×5, first 2 shown]
	ds_load_2addr_b64 v[26:29], v89 offset1:34
	ds_load_2addr_b64 v[30:33], v89 offset0:68 offset1:102
	ds_load_b64 v[46:47], v89 offset:1088
	v_add_nc_u32_e32 v38, 0x400, v89
	v_add_nc_u32_e32 v42, 0x800, v89
	ds_load_2addr_b64 v[34:37], v89 offset0:170 offset1:204
	v_add_nc_u32_e32 v69, 0x400, v88
	s_wait_loadcnt_dscnt 0x403
	v_dual_mul_f32 v67, v29, v21 :: v_dual_add_nc_u32 v70, 0x800, v88
	s_wait_dscnt 0x2
	v_mul_f32_e32 v71, v31, v23
	ds_load_2addr_b64 v[38:41], v38 offset0:110 offset1:144
	s_wait_loadcnt_dscnt 0x302
	v_mul_f32_e32 v75, v47, v19
	ds_load_2addr_b64 v[42:45], v42 offset0:50 offset1:84
	v_mul_f32_e32 v68, v28, v21
	v_dual_mul_f32 v72, v30, v23 :: v_dual_mul_f32 v73, v33, v17
	s_wait_loadcnt_dscnt 0x202
	v_dual_mul_f32 v74, v32, v17 :: v_dual_mul_f32 v79, v37, v11
	v_dual_mul_f32 v76, v46, v19 :: v_dual_mul_f32 v77, v35, v9
	v_mul_f32_e32 v78, v34, v9
	v_mul_f32_e32 v80, v36, v11
	v_fma_f32 v28, v28, v20, -v67
	s_wait_loadcnt_dscnt 0x101
	v_mul_f32_e32 v81, v39, v5
	s_wait_loadcnt_dscnt 0x0
	v_dual_mul_f32 v82, v38, v5 :: v_dual_mul_f32 v101, v44, v15
	v_dual_mul_f32 v96, v41, v7 :: v_dual_mul_f32 v99, v42, v13
	;; [unrolled: 1-line block ×3, first 2 shown]
	v_mul_f32_e32 v100, v45, v15
	s_delay_alu instid0(VALU_DEP_4) | instskip(NEXT) | instid1(VALU_DEP_4)
	v_dual_fmac_f32 v78, v35, v8 :: v_dual_fmac_f32 v101, v45, v14
	v_fma_f32 v35, v40, v6, -v96
	v_fmac_f32_e32 v68, v29, v20
	v_fma_f32 v29, v30, v22, -v71
	v_fma_f32 v30, v32, v16, -v73
	;; [unrolled: 1-line block ×4, first 2 shown]
	v_dual_fmac_f32 v97, v41, v6 :: v_dual_fmac_f32 v82, v39, v4
	v_fma_f32 v39, v42, v12, -v98
	v_fmac_f32_e32 v72, v31, v22
	v_fma_f32 v31, v46, v18, -v75
	v_fmac_f32_e32 v74, v33, v16
	s_delay_alu instid0(VALU_DEP_4) | instskip(SKIP_4) | instid1(VALU_DEP_3)
	v_dual_fmac_f32 v76, v47, v18 :: v_dual_sub_f32 v45, v29, v39
	v_fmac_f32_e32 v99, v43, v12
	v_fma_f32 v41, v44, v14, -v100
	v_fma_f32 v33, v36, v10, -v79
	v_dual_add_f32 v47, v30, v35 :: v_dual_fmac_f32 v80, v37, v10
	v_dual_add_f32 v37, v27, v68 :: v_dual_add_f32 v38, v28, v41
	v_dual_sub_f32 v77, v31, v34 :: v_dual_sub_f32 v42, v68, v101
	v_dual_add_f32 v40, v68, v101 :: v_dual_add_f32 v73, v31, v34
	v_add_f32_e32 v67, v74, v97
	v_dual_add_f32 v36, v26, v28 :: v_dual_add_f32 v75, v76, v82
	v_dual_sub_f32 v68, v30, v35 :: v_dual_sub_f32 v79, v76, v82
	v_dual_sub_f32 v28, v28, v41 :: v_dual_add_f32 v43, v29, v39
	v_dual_add_f32 v44, v72, v99 :: v_dual_sub_f32 v71, v74, v97
	s_delay_alu instid0(VALU_DEP_4)
	v_dual_sub_f32 v100, v78, v80 :: v_dual_add_f32 v29, v36, v29
	v_dual_add_f32 v36, v37, v72 :: v_dual_mul_f32 v109, 0xbf68dda4, v45
	v_mul_f32_e32 v117, 0xbf7d64f0, v68
	v_mul_f32_e32 v103, 0xbf68dda4, v28
	v_dual_mul_f32 v37, 0xbf0a6770, v42 :: v_dual_sub_f32 v46, v72, v99
	v_mul_f32_e32 v105, 0xbf7d64f0, v28
	v_dual_mul_f32 v72, 0xbf0a6770, v28 :: v_dual_mul_f32 v129, 0xbf0a6770, v77
	v_dual_mul_f32 v116, 0xbf7d64f0, v71 :: v_dual_add_f32 v29, v29, v30
	v_add_f32_e32 v30, v36, v74
	v_fma_f32 v36, 0x3f575c64, v38, -v37
	v_dual_sub_f32 v98, v32, v33 :: v_dual_mul_f32 v107, 0xbf4178ce, v28
	s_delay_alu instid0(VALU_DEP_4) | instskip(NEXT) | instid1(VALU_DEP_3)
	v_dual_mul_f32 v102, 0xbf68dda4, v42 :: v_dual_add_f32 v29, v29, v31
	v_dual_mul_f32 v104, 0xbf7d64f0, v42 :: v_dual_add_f32 v31, v26, v36
	v_dual_mul_f32 v106, 0xbf4178ce, v42 :: v_dual_mul_f32 v111, 0xbf4178ce, v45
	v_dual_mul_f32 v42, 0xbe903f40, v42 :: v_dual_mul_f32 v131, 0xbe903f40, v77
	;; [unrolled: 1-line block ×3, first 2 shown]
	v_mul_f32_e32 v110, 0xbf4178ce, v46
	v_dual_mul_f32 v112, 0x3e903f40, v46 :: v_dual_mul_f32 v113, 0x3e903f40, v45
	v_dual_mul_f32 v114, 0x3f7d64f0, v46 :: v_dual_mul_f32 v115, 0x3f7d64f0, v45
	v_mul_f32_e32 v45, 0x3f0a6770, v45
	v_dual_fmamk_f32 v74, v40, 0x3f575c64, v72 :: v_dual_fmac_f32 v37, 0x3f575c64, v38
	v_mul_f32_e32 v108, 0xbf68dda4, v46
	v_mul_f32_e32 v46, 0x3f0a6770, v46
	v_fmamk_f32 v143, v40, 0xbe11bafb, v105
	v_fma_f32 v105, 0xbe11bafb, v40, -v105
	v_dual_add_f32 v81, v32, v33 :: v_dual_add_f32 v96, v78, v80
	v_dual_mul_f32 v118, 0x3e903f40, v71 :: v_dual_mul_f32 v119, 0x3e903f40, v68
	v_dual_mul_f32 v120, 0x3f68dda4, v71 :: v_dual_mul_f32 v121, 0x3f68dda4, v68
	;; [unrolled: 1-line block ×5, first 2 shown]
	v_mul_f32_e32 v137, 0xbf4178ce, v98
	v_dual_mul_f32 v126, 0x3f7d64f0, v79 :: v_dual_mul_f32 v127, 0x3f7d64f0, v77
	v_dual_mul_f32 v128, 0xbf0a6770, v79 :: v_dual_add_f32 v105, v27, v105
	v_dual_mul_f32 v134, 0x3f0a6770, v100 :: v_dual_mul_f32 v135, 0x3f0a6770, v98
	v_mul_f32_e32 v138, 0x3f68dda4, v100
	v_fma_f32 v72, 0x3f575c64, v40, -v72
	v_mul_f32_e32 v139, 0x3f68dda4, v98
	v_fma_f32 v140, 0x3ed4b147, v38, -v102
	v_dual_fmamk_f32 v141, v40, 0x3ed4b147, v103 :: v_dual_fmac_f32 v102, 0x3ed4b147, v38
	v_fma_f32 v103, 0x3ed4b147, v40, -v103
	v_fma_f32 v142, 0xbe11bafb, v38, -v104
	v_fmac_f32_e32 v104, 0xbe11bafb, v38
	v_mul_f32_e32 v132, 0xbe903f40, v100
	v_fma_f32 v144, 0xbf27a4f4, v38, -v106
	v_dual_fmamk_f32 v145, v40, 0xbf27a4f4, v107 :: v_dual_fmac_f32 v106, 0xbf27a4f4, v38
	v_mul_f32_e32 v130, 0xbe903f40, v79
	v_mul_f32_e32 v79, 0x3f68dda4, v79
	v_fma_f32 v107, 0xbf27a4f4, v40, -v107
	v_mul_f32_e32 v136, 0xbf4178ce, v100
	v_fma_f32 v146, 0xbf75a155, v38, -v42
	v_dual_fmamk_f32 v147, v40, 0xbf75a155, v28 :: v_dual_add_f32 v36, v27, v74
	v_mul_f32_e32 v100, 0xbf7d64f0, v100
	v_dual_fmac_f32 v42, 0xbf75a155, v38 :: v_dual_fmamk_f32 v151, v44, 0xbf75a155, v113
	v_fma_f32 v28, 0xbf75a155, v40, -v28
	v_mul_f32_e32 v98, 0xbf7d64f0, v98
	v_fma_f32 v148, 0xbf27a4f4, v43, -v110
	v_dual_fmamk_f32 v149, v44, 0xbf27a4f4, v111 :: v_dual_fmac_f32 v110, 0xbf27a4f4, v43
	v_fma_f32 v150, 0xbf75a155, v43, -v112
	v_dual_fmac_f32 v112, 0xbf75a155, v43 :: v_dual_fmamk_f32 v157, v67, 0xbf75a155, v119
	v_fma_f32 v113, 0xbf75a155, v44, -v113
	v_fma_f32 v152, 0xbe11bafb, v43, -v114
	v_dual_fmamk_f32 v153, v44, 0xbe11bafb, v115 :: v_dual_fmac_f32 v114, 0xbe11bafb, v43
	v_fma_f32 v154, 0x3f575c64, v43, -v46
	v_dual_fmamk_f32 v155, v44, 0x3f575c64, v45 :: v_dual_fmac_f32 v46, 0x3f575c64, v43
	v_add_f32_e32 v37, v26, v37
	v_fma_f32 v38, 0x3ed4b147, v43, -v108
	v_dual_fmac_f32 v108, 0x3ed4b147, v43 :: v_dual_fmamk_f32 v159, v67, 0x3ed4b147, v121
	v_fma_f32 v43, 0x3f575c64, v44, -v45
	v_fmamk_f32 v45, v67, 0xbe11bafb, v117
	v_dual_mul_f32 v77, 0x3f68dda4, v77 :: v_dual_add_f32 v30, v30, v76
	v_fmamk_f32 v40, v44, 0x3ed4b147, v109
	v_fma_f32 v109, 0x3ed4b147, v44, -v109
	v_fma_f32 v111, 0xbf27a4f4, v44, -v111
	;; [unrolled: 1-line block ×4, first 2 shown]
	v_dual_fmac_f32 v116, 0xbe11bafb, v47 :: v_dual_fmamk_f32 v165, v75, 0xbe11bafb, v127
	v_fma_f32 v117, 0xbe11bafb, v67, -v117
	v_fma_f32 v156, 0xbf75a155, v47, -v118
	v_dual_fmac_f32 v118, 0xbf75a155, v47 :: v_dual_fmamk_f32 v169, v75, 0xbf75a155, v131
	v_fma_f32 v119, 0xbf75a155, v67, -v119
	v_fma_f32 v158, 0x3ed4b147, v47, -v120
	;; [unrolled: 3-line block ×3, first 2 shown]
	v_dual_fmamk_f32 v161, v67, 0x3f575c64, v123 :: v_dual_fmac_f32 v122, 0x3f575c64, v47
	v_fma_f32 v123, 0x3f575c64, v67, -v123
	v_fma_f32 v162, 0xbf27a4f4, v47, -v71
	v_dual_fmamk_f32 v163, v67, 0xbf27a4f4, v68 :: v_dual_add_f32 v74, v26, v140
	v_fmac_f32_e32 v71, 0xbf27a4f4, v47
	v_fma_f32 v47, 0xbf27a4f4, v67, -v68
	v_fma_f32 v67, 0xbf27a4f4, v73, -v124
	v_fmac_f32_e32 v124, 0xbf27a4f4, v73
	v_fmamk_f32 v68, v75, 0xbf27a4f4, v125
	v_fma_f32 v125, 0xbf27a4f4, v75, -v125
	v_fma_f32 v164, 0xbe11bafb, v73, -v126
	v_fmac_f32_e32 v126, 0xbe11bafb, v73
	v_fma_f32 v127, 0xbe11bafb, v75, -v127
	v_fma_f32 v166, 0x3f575c64, v73, -v128
	v_dual_fmamk_f32 v167, v75, 0x3f575c64, v129 :: v_dual_fmac_f32 v128, 0x3f575c64, v73
	v_fma_f32 v129, 0x3f575c64, v75, -v129
	v_fma_f32 v131, 0xbf75a155, v75, -v131
	;; [unrolled: 1-line block ×3, first 2 shown]
	v_fmac_f32_e32 v79, 0x3ed4b147, v73
	v_fma_f32 v172, 0x3f575c64, v81, -v134
	v_dual_fmamk_f32 v173, v96, 0x3f575c64, v135 :: v_dual_fmac_f32 v134, 0x3f575c64, v81
	v_fma_f32 v135, 0x3f575c64, v96, -v135
	v_fma_f32 v176, 0x3ed4b147, v81, -v138
	v_fmac_f32_e32 v138, 0x3ed4b147, v81
	v_fma_f32 v178, 0xbe11bafb, v81, -v100
	v_dual_fmamk_f32 v179, v96, 0xbe11bafb, v98 :: v_dual_add_f32 v76, v27, v141
	v_fmac_f32_e32 v100, 0xbe11bafb, v81
	v_dual_add_f32 v72, v27, v72 :: v_dual_fmamk_f32 v177, v96, 0x3ed4b147, v139
	v_add_f32_e32 v141, v27, v145
	v_fma_f32 v168, 0xbf75a155, v73, -v130
	v_fmac_f32_e32 v130, 0xbf75a155, v73
	v_fma_f32 v73, 0x3ed4b147, v75, -v77
	v_fmamk_f32 v77, v96, 0xbf75a155, v133
	v_fma_f32 v75, 0xbf75a155, v81, -v132
	v_dual_add_f32 v107, v27, v107 :: v_dual_fmac_f32 v132, 0xbf75a155, v81
	v_fma_f32 v174, 0xbf27a4f4, v81, -v136
	v_dual_fmamk_f32 v175, v96, 0xbf27a4f4, v137 :: v_dual_fmac_f32 v136, 0xbf27a4f4, v81
	v_fma_f32 v81, 0xbe11bafb, v96, -v98
	v_add_f32_e32 v98, v27, v103
	v_add_f32_e32 v103, v27, v143
	;; [unrolled: 1-line block ×4, first 2 shown]
	v_dual_add_f32 v28, v29, v32 :: v_dual_add_f32 v29, v30, v78
	v_add_f32_e32 v78, v113, v105
	v_dual_add_f32 v30, v38, v31 :: v_dual_add_f32 v31, v40, v36
	v_fma_f32 v133, 0xbf75a155, v96, -v133
	v_fma_f32 v137, 0xbf27a4f4, v96, -v137
	;; [unrolled: 1-line block ×3, first 2 shown]
	v_add_f32_e32 v96, v26, v102
	v_dual_add_f32 v102, v26, v142 :: v_dual_add_f32 v27, v43, v27
	v_dual_add_f32 v104, v26, v104 :: v_dual_add_f32 v31, v45, v31
	;; [unrolled: 1-line block ×4, first 2 shown]
	v_add_f32_e32 v45, v121, v78
	v_add_f32_e32 v30, v44, v30
	;; [unrolled: 1-line block ×6, first 2 shown]
	v_dual_add_f32 v30, v67, v30 :: v_dual_add_f32 v67, v129, v45
	v_add_f32_e32 v28, v28, v33
	v_dual_add_f32 v142, v26, v146 :: v_dual_add_f32 v27, v47, v27
	v_add_f32_e32 v33, v117, v36
	v_add_f32_e32 v40, v110, v96
	s_delay_alu instid0(VALU_DEP_4)
	v_add_f32_e32 v28, v28, v34
	v_add_f32_e32 v38, v149, v76
	v_dual_add_f32 v76, v112, v104 :: v_dual_add_f32 v27, v73, v27
	v_add_f32_e32 v31, v68, v31
	v_add_f32_e32 v33, v125, v33
	v_dual_add_f32 v73, v28, v35 :: v_dual_add_f32 v140, v26, v144
	v_add_f32_e32 v26, v26, v42
	v_add_f32_e32 v44, v120, v76
	;; [unrolled: 1-line block ×3, first 2 shown]
	v_dual_add_f32 v102, v114, v106 :: v_dual_add_f32 v45, v77, v31
	v_dual_add_f32 v104, v154, v142 :: v_dual_add_f32 v31, v133, v33
	;; [unrolled: 1-line block ×4, first 2 shown]
	v_add_f32_e32 v40, v119, v42
	v_add_f32_e32 v42, v158, v72
	s_delay_alu instid0(VALU_DEP_4) | instskip(SKIP_4) | instid1(VALU_DEP_4)
	v_add_f32_e32 v34, v164, v36
	v_add_f32_e32 v36, v165, v37
	v_dual_add_f32 v26, v46, v26 :: v_dual_add_f32 v35, v137, v67
	v_add_f32_e32 v67, v33, v41
	v_add_f32_e32 v37, v126, v38
	;; [unrolled: 1-line block ×6, first 2 shown]
	v_dual_add_f32 v98, v153, v141 :: v_dual_add_f32 v103, v115, v107
	v_add_f32_e32 v105, v155, v143
	v_add_f32_e32 v26, v71, v26
	v_dual_add_f32 v29, v29, v82 :: v_dual_add_f32 v96, v152, v140
	v_dual_add_f32 v28, v134, v37 :: v_dual_add_f32 v37, v175, v42
	v_add_f32_e32 v72, v161, v98
	v_add_f32_e32 v74, v122, v102
	;; [unrolled: 1-line block ×4, first 2 shown]
	s_delay_alu instid0(VALU_DEP_4) | instskip(SKIP_2) | instid1(VALU_DEP_3)
	v_dual_add_f32 v80, v163, v105 :: v_dual_add_f32 v71, v169, v72
	v_add_f32_e32 v32, v116, v32
	v_dual_add_f32 v26, v79, v26 :: v_dual_add_f32 v79, v29, v97
	v_dual_add_f32 v46, v160, v96 :: v_dual_add_f32 v39, v177, v71
	s_delay_alu instid0(VALU_DEP_3) | instskip(SKIP_1) | instid1(VALU_DEP_3)
	v_add_f32_e32 v32, v124, v32
	v_dual_add_f32 v43, v128, v44 :: v_dual_add_f32 v72, v130, v74
	v_add_f32_e32 v68, v168, v46
	v_add_f32_e32 v74, v131, v76
	;; [unrolled: 1-line block ×8, first 2 shown]
	v_dual_add_f32 v29, v135, v38 :: v_dual_add_f32 v36, v174, v40
	v_add_f32_e32 v34, v136, v43
	v_add_f32_e32 v38, v176, v68
	;; [unrolled: 1-line block ×4, first 2 shown]
	v_dual_add_f32 v68, v42, v101 :: v_dual_add_f32 v41, v179, v78
	v_dual_add_f32 v42, v100, v26 :: v_dual_add_f32 v43, v81, v27
	v_add_f32_e32 v33, v139, v74
	ds_store_b64 v88, v[67:68]
	ds_store_2addr_b64 v88, v[44:45], v[46:47] offset0:34 offset1:68
	ds_store_2addr_b64 v88, v[36:37], v[38:39] offset0:102 offset1:136
	;; [unrolled: 1-line block ×5, first 2 shown]
	global_wb scope:SCOPE_SE
	s_wait_dscnt 0x0
	s_barrier_signal -1
	s_barrier_wait -1
	global_inv scope:SCOPE_SE
	s_and_saveexec_b32 s1, vcc_lo
	s_cbranch_execz .LBB0_13
; %bb.12:
	global_load_b64 v[26:27], v84, s[12:13] offset:2992
	s_add_nc_u64 s[2:3], s[12:13], 0xbb0
	s_clause 0xf
	global_load_b64 v[116:117], v84, s[2:3] offset:176
	global_load_b64 v[118:119], v84, s[2:3] offset:352
	;; [unrolled: 1-line block ×16, first 2 shown]
	ds_load_b64 v[71:72], v88
	s_wait_loadcnt_dscnt 0x1000
	v_mul_f32_e32 v73, v72, v27
	v_mul_f32_e32 v74, v71, v27
	s_delay_alu instid0(VALU_DEP_2) | instskip(NEXT) | instid1(VALU_DEP_2)
	v_fma_f32 v73, v71, v26, -v73
	v_fmac_f32_e32 v74, v72, v26
	ds_store_b64 v88, v[73:74]
	ds_load_2addr_b64 v[71:74], v88 offset0:22 offset1:44
	ds_load_2addr_b64 v[75:78], v88 offset0:66 offset1:88
	;; [unrolled: 1-line block ×8, first 2 shown]
	s_wait_loadcnt_dscnt 0xf07
	v_mul_f32_e32 v27, v71, v117
	s_wait_loadcnt 0xe
	v_dual_mul_f32 v26, v72, v117 :: v_dual_mul_f32 v117, v73, v119
	s_wait_loadcnt_dscnt 0xd06
	v_dual_mul_f32 v148, v74, v119 :: v_dual_mul_f32 v119, v75, v121
	s_wait_loadcnt 0xc
	v_dual_mul_f32 v149, v76, v121 :: v_dual_mul_f32 v150, v78, v123
	s_wait_loadcnt_dscnt 0xb05
	v_mul_f32_e32 v151, v80, v125
	v_mul_f32_e32 v121, v77, v123
	s_wait_loadcnt 0xa
	v_dual_mul_f32 v123, v79, v125 :: v_dual_mul_f32 v152, v82, v127
	v_mul_f32_e32 v125, v81, v127
	s_wait_loadcnt_dscnt 0x804
	v_dual_mul_f32 v153, v97, v129 :: v_dual_mul_f32 v154, v99, v131
	s_wait_loadcnt_dscnt 0x603
	v_dual_mul_f32 v127, v96, v129 :: v_dual_mul_f32 v156, v103, v135
	v_mul_f32_e32 v129, v98, v131
	s_wait_loadcnt_dscnt 0x402
	v_dual_mul_f32 v155, v101, v133 :: v_dual_mul_f32 v158, v107, v139
	s_wait_loadcnt_dscnt 0x201
	v_dual_mul_f32 v131, v100, v133 :: v_dual_mul_f32 v160, v111, v143
	v_mul_f32_e32 v133, v102, v135
	s_wait_loadcnt_dscnt 0x0
	v_dual_mul_f32 v157, v105, v137 :: v_dual_mul_f32 v162, v115, v147
	v_mul_f32_e32 v135, v104, v137
	v_mul_f32_e32 v137, v106, v139
	;; [unrolled: 1-line block ×8, first 2 shown]
	v_fma_f32 v26, v71, v116, -v26
	v_fmac_f32_e32 v27, v72, v116
	v_fma_f32 v116, v73, v118, -v148
	v_fmac_f32_e32 v117, v74, v118
	;; [unrolled: 2-line block ×16, first 2 shown]
	ds_store_2addr_b64 v88, v[26:27], v[116:117] offset0:22 offset1:44
	ds_store_2addr_b64 v88, v[118:119], v[120:121] offset0:66 offset1:88
	;; [unrolled: 1-line block ×8, first 2 shown]
.LBB0_13:
	s_wait_alu 0xfffe
	s_or_b32 exec_lo, exec_lo, s1
	global_wb scope:SCOPE_SE
	s_wait_dscnt 0x0
	s_barrier_signal -1
	s_barrier_wait -1
	global_inv scope:SCOPE_SE
	s_and_saveexec_b32 s1, vcc_lo
	s_cbranch_execz .LBB0_15
; %bb.14:
	v_add_nc_u32_e32 v0, 0x400, v88
	v_add_nc_u32_e32 v1, 0x800, v88
	ds_load_2addr_b64 v[24:27], v0 offset0:114 offset1:136
	ds_load_2addr_b64 v[69:72], v1 offset0:30 offset1:52
	;; [unrolled: 1-line block ×3, first 2 shown]
	ds_load_b64 v[67:68], v88
	ds_load_2addr_b64 v[44:47], v88 offset0:22 offset1:44
	ds_load_2addr_b64 v[36:39], v88 offset0:66 offset1:88
	;; [unrolled: 1-line block ×5, first 2 shown]
	s_wait_dscnt 0x8
	v_dual_mov_b32 v54, v27 :: v_dual_mov_b32 v53, v26
	s_wait_dscnt 0x7
	v_dual_mov_b32 v51, v69 :: v_dual_mov_b32 v52, v70
	v_dual_mov_b32 v49, v71 :: v_dual_mov_b32 v50, v72
.LBB0_15:
	s_wait_alu 0xfffe
	s_or_b32 exec_lo, exec_lo, s1
	s_wait_dscnt 0x4
	v_dual_sub_f32 v112, v45, v3 :: v_dual_add_f32 v117, v3, v45
	v_add_f32_e32 v96, v2, v44
	v_dual_sub_f32 v98, v44, v2 :: v_dual_add_f32 v119, v1, v47
	s_delay_alu instid0(VALU_DEP_3) | instskip(NEXT) | instid1(VALU_DEP_4)
	v_mul_f32_e32 v26, 0xbf06c442, v112
	v_mul_f32_e32 v75, 0xbf1a4643, v117
	;; [unrolled: 1-line block ×3, first 2 shown]
	v_add_f32_e32 v97, v0, v46
	v_mul_f32_e32 v27, 0xbf59a7d5, v117
	v_fma_f32 v71, 0xbf59a7d5, v96, -v26
	v_dual_fmamk_f32 v70, v98, 0xbf4c4adb, v75 :: v_dual_sub_f32 v113, v47, v1
	v_fma_f32 v69, 0xbf1a4643, v96, -v73
	s_wait_dscnt 0x3
	v_dual_sub_f32 v115, v39, v52 :: v_dual_add_f32 v126, v52, v39
	s_delay_alu instid0(VALU_DEP_3) | instskip(SKIP_3) | instid1(VALU_DEP_3)
	v_add_f32_e32 v70, v68, v70
	v_dual_mul_f32 v74, 0x3f763a35, v113 :: v_dual_sub_f32 v99, v46, v0
	v_dual_add_f32 v69, v67, v69 :: v_dual_fmamk_f32 v72, v98, 0xbf06c442, v27
	v_dual_add_f32 v71, v67, v71 :: v_dual_sub_f32 v114, v37, v50
	v_fma_f32 v76, 0xbe8c1d8e, v97, -v74
	v_mul_f32_e32 v78, 0xbe8c1d8e, v119
	v_dual_add_f32 v100, v49, v36 :: v_dual_add_f32 v121, v50, v37
	v_add_f32_e32 v72, v68, v72
	s_delay_alu instid0(VALU_DEP_4) | instskip(NEXT) | instid1(VALU_DEP_4)
	v_add_f32_e32 v69, v76, v69
	v_fmamk_f32 v77, v99, 0x3f763a35, v78
	v_mul_f32_e32 v143, 0x3ee437d1, v119
	v_dual_mul_f32 v76, 0xbeb8f4ab, v114 :: v_dual_sub_f32 v103, v38, v51
	v_mul_f32_e32 v144, 0xbf59a7d5, v126
	s_delay_alu instid0(VALU_DEP_4) | instskip(NEXT) | instid1(VALU_DEP_4)
	v_add_f32_e32 v70, v77, v70
	v_dual_mul_f32 v82, 0x3f65296c, v113 :: v_dual_fmamk_f32 v79, v99, 0x3f65296c, v143
	s_delay_alu instid0(VALU_DEP_4) | instskip(SKIP_1) | instid1(VALU_DEP_3)
	v_fma_f32 v81, 0x3f6eb680, v100, -v76
	v_dual_sub_f32 v101, v36, v49 :: v_dual_mul_f32 v148, 0xbf7ee86f, v114
	v_fma_f32 v77, 0x3ee437d1, v97, -v82
	s_delay_alu instid0(VALU_DEP_4) | instskip(SKIP_4) | instid1(VALU_DEP_3)
	v_add_f32_e32 v72, v79, v72
	v_mul_f32_e32 v80, 0x3f6eb680, v121
	v_dual_add_f32 v69, v81, v69 :: v_dual_add_f32 v102, v51, v38
	s_wait_dscnt 0x2
	v_dual_add_f32 v71, v77, v71 :: v_dual_add_f32 v122, v54, v41
	v_fmamk_f32 v79, v101, 0xbeb8f4ab, v80
	v_mul_f32_e32 v149, 0x3dbcf732, v121
	v_dual_sub_f32 v105, v40, v53 :: v_dual_sub_f32 v116, v41, v54
	s_delay_alu instid0(VALU_DEP_4) | instskip(NEXT) | instid1(VALU_DEP_4)
	v_mul_f32_e32 v146, 0x3dbcf732, v122
	v_add_f32_e32 v70, v79, v70
	v_fma_f32 v79, 0x3dbcf732, v100, -v148
	v_fmamk_f32 v81, v101, 0xbf7ee86f, v149
	v_mul_f32_e32 v77, 0xbf06c442, v115
	v_mul_f32_e32 v152, 0xbf1a4643, v126
	v_dual_sub_f32 v118, v43, v25 :: v_dual_add_f32 v123, v25, v43
	s_delay_alu instid0(VALU_DEP_4) | instskip(NEXT) | instid1(VALU_DEP_4)
	v_dual_add_f32 v71, v79, v71 :: v_dual_add_f32 v72, v81, v72
	v_fma_f32 v104, 0xbf59a7d5, v102, -v77
	v_fmamk_f32 v81, v103, 0xbf06c442, v144
	v_mul_f32_e32 v79, 0x3f7ee86f, v116
	v_fmamk_f32 v107, v103, 0x3f4c4adb, v152
	s_delay_alu instid0(VALU_DEP_4) | instskip(SKIP_4) | instid1(VALU_DEP_4)
	v_dual_mul_f32 v156, 0x3f6eb680, v122 :: v_dual_add_f32 v69, v104, v69
	v_dual_add_f32 v104, v53, v40 :: v_dual_mul_f32 v151, 0x3f4c4adb, v115
	v_add_f32_e32 v70, v81, v70
	v_mul_f32_e32 v154, 0xbeb8f4ab, v116
	v_mul_f32_e32 v157, 0xbe3c28d5, v118
	v_fma_f32 v108, 0x3dbcf732, v104, -v79
	v_fma_f32 v106, 0xbf1a4643, v102, -v151
	s_wait_dscnt 0x0
	v_sub_f32_e32 v120, v33, v31
	v_fma_f32 v109, 0x3f6eb680, v104, -v154
	v_add_f32_e32 v125, v31, v33
	v_add_f32_e32 v69, v108, v69
	v_dual_add_f32 v71, v106, v71 :: v_dual_fmamk_f32 v108, v105, 0x3f7ee86f, v146
	v_add_f32_e32 v106, v24, v42
	v_add_f32_e32 v72, v107, v72
	v_dual_sub_f32 v107, v42, v24 :: v_dual_mul_f32 v150, 0x3f3d2fb0, v123
	v_fmamk_f32 v110, v105, 0xbeb8f4ab, v156
	v_mul_f32_e32 v81, 0xbf2c7751, v118
	v_dual_add_f32 v70, v108, v70 :: v_dual_add_f32 v71, v109, v71
	s_delay_alu instid0(VALU_DEP_4) | instskip(NEXT) | instid1(VALU_DEP_4)
	v_fmamk_f32 v108, v107, 0xbf2c7751, v150
	v_add_f32_e32 v72, v110, v72
	s_delay_alu instid0(VALU_DEP_4)
	v_fma_f32 v111, 0x3f3d2fb0, v106, -v81
	v_mul_f32_e32 v159, 0xbf7ba420, v123
	v_fma_f32 v110, 0xbf7ba420, v106, -v157
	v_add_f32_e32 v70, v108, v70
	v_dual_add_f32 v108, v30, v32 :: v_dual_mul_f32 v153, 0xbf7ba420, v125
	v_sub_f32_e32 v109, v32, v30
	v_mul_f32_e32 v147, 0xbe3c28d5, v120
	v_dual_mul_f32 v158, 0x3f2c7751, v120 :: v_dual_add_f32 v71, v110, v71
	s_delay_alu instid0(VALU_DEP_3) | instskip(SKIP_1) | instid1(VALU_DEP_4)
	v_dual_add_f32 v69, v111, v69 :: v_dual_fmamk_f32 v110, v109, 0xbe3c28d5, v153
	v_fmamk_f32 v111, v107, 0xbe3c28d5, v159
	v_fma_f32 v124, 0xbf7ba420, v108, -v147
	s_delay_alu instid0(VALU_DEP_4) | instskip(NEXT) | instid1(VALU_DEP_4)
	v_fma_f32 v127, 0x3f3d2fb0, v108, -v158
	v_dual_mul_f32 v161, 0x3f3d2fb0, v125 :: v_dual_add_f32 v70, v110, v70
	s_delay_alu instid0(VALU_DEP_3) | instskip(NEXT) | instid1(VALU_DEP_3)
	v_dual_add_f32 v72, v111, v72 :: v_dual_add_f32 v69, v124, v69
	v_add_f32_e32 v128, v127, v71
	v_dual_sub_f32 v124, v35, v29 :: v_dual_add_f32 v127, v29, v35
	s_delay_alu instid0(VALU_DEP_4)
	v_dual_fmamk_f32 v71, v109, 0x3f2c7751, v161 :: v_dual_add_f32 v110, v28, v34
	v_sub_f32_e32 v111, v34, v28
	global_wb scope:SCOPE_SE
	v_mul_f32_e32 v162, 0xbe8c1d8e, v127
	v_mul_f32_e32 v155, 0x3ee437d1, v127
	;; [unrolled: 1-line block ×4, first 2 shown]
	v_add_f32_e32 v129, v71, v72
	v_fmamk_f32 v131, v111, 0xbf763a35, v162
	v_fmamk_f32 v72, v111, 0x3f65296c, v155
	v_fma_f32 v71, 0x3ee437d1, v110, -v145
	v_fma_f32 v130, 0xbe8c1d8e, v110, -v160
	s_barrier_signal -1
	s_barrier_wait -1
	s_delay_alu instid0(VALU_DEP_2) | instskip(NEXT) | instid1(VALU_DEP_2)
	v_dual_add_f32 v72, v72, v70 :: v_dual_add_f32 v71, v71, v69
	v_dual_add_f32 v69, v130, v128 :: v_dual_add_f32 v70, v131, v129
	global_inv scope:SCOPE_SE
	s_and_saveexec_b32 s1, vcc_lo
	s_cbranch_execz .LBB0_17
; %bb.16:
	v_mul_f32_e32 v141, 0xbe3c28d5, v112
	v_mul_f32_e32 v142, 0x3eb8f4ab, v113
	;; [unrolled: 1-line block ×3, first 2 shown]
	v_dual_mul_f32 v135, 0xbf7ba420, v117 :: v_dual_mul_f32 v184, 0xbf7ba420, v106
	s_delay_alu instid0(VALU_DEP_4) | instskip(SKIP_3) | instid1(VALU_DEP_4)
	v_fmamk_f32 v134, v96, 0xbf7ba420, v141
	v_mul_f32_e32 v167, 0x3f763a35, v99
	v_fmamk_f32 v138, v97, 0x3f6eb680, v142
	v_dual_mul_f32 v140, 0xbf06c442, v98 :: v_dual_mul_f32 v175, 0xbf06c442, v103
	v_dual_add_f32 v134, v67, v134 :: v_dual_mul_f32 v169, 0x3f65296c, v99
	v_dual_mul_f32 v165, 0xbf59a7d5, v96 :: v_dual_mul_f32 v174, 0xbf59a7d5, v102
	s_delay_alu instid0(VALU_DEP_3) | instskip(NEXT) | instid1(VALU_DEP_3)
	v_dual_mul_f32 v177, 0x3f4c4adb, v103 :: v_dual_sub_f32 v198, v27, v140
	v_add_f32_e32 v134, v138, v134
	v_fmamk_f32 v138, v100, 0xbf59a7d5, v136
	v_mul_f32_e32 v178, 0x3dbcf732, v104
	v_dual_mul_f32 v179, 0x3f7ee86f, v105 :: v_dual_add_f32 v26, v165, v26
	v_mul_f32_e32 v181, 0xbeb8f4ab, v105
	s_delay_alu instid0(VALU_DEP_4)
	v_dual_add_f32 v193, v138, v134 :: v_dual_mul_f32 v134, 0x3dbcf732, v127
	v_mul_f32_e32 v173, 0xbf7ee86f, v101
	v_mul_f32_e32 v130, 0x3f6eb680, v119
	v_dual_sub_f32 v152, v152, v177 :: v_dual_mul_f32 v197, 0xbf763a35, v111
	v_mul_f32_e32 v140, 0xbf763a35, v120
	v_fmamk_f32 v196, v111, 0xbf7ee86f, v134
	v_fmamk_f32 v128, v98, 0x3e3c28d5, v135
	v_mul_f32_e32 v164, 0xbf4c4adb, v98
	v_fmamk_f32 v131, v99, 0xbeb8f4ab, v130
	v_dual_add_f32 v26, v67, v26 :: v_dual_mul_f32 v163, 0xbf1a4643, v96
	s_delay_alu instid0(VALU_DEP_4) | instskip(SKIP_3) | instid1(VALU_DEP_4)
	v_dual_mul_f32 v176, 0xbf1a4643, v102 :: v_dual_add_f32 v129, v68, v128
	v_mul_f32_e32 v128, 0xbf59a7d5, v121
	v_mul_f32_e32 v170, 0x3f6eb680, v100
	v_sub_f32_e32 v75, v75, v164
	v_dual_mul_f32 v188, 0x3f3d2fb0, v108 :: v_dual_add_f32 v131, v131, v129
	s_delay_alu instid0(VALU_DEP_4) | instskip(SKIP_3) | instid1(VALU_DEP_3)
	v_fmamk_f32 v132, v101, 0x3f06c442, v128
	v_mul_f32_e32 v129, 0x3f3d2fb0, v126
	v_mul_f32_e32 v171, 0xbeb8f4ab, v101
	v_dual_mul_f32 v138, 0xbf4c4adb, v116 :: v_dual_add_f32 v75, v68, v75
	v_dual_add_f32 v132, v132, v131 :: v_dual_fmamk_f32 v133, v103, 0xbf2c7751, v129
	v_mul_f32_e32 v131, 0xbf1a4643, v122
	v_dual_mul_f32 v166, 0xbe8c1d8e, v97 :: v_dual_fmamk_f32 v165, v108, 0xbe8c1d8e, v140
	s_delay_alu instid0(VALU_DEP_3) | instskip(NEXT) | instid1(VALU_DEP_3)
	v_dual_sub_f32 v78, v78, v167 :: v_dual_add_f32 v133, v133, v132
	v_fmamk_f32 v137, v105, 0x3f4c4adb, v131
	v_mul_f32_e32 v132, 0x3ee437d1, v123
	s_delay_alu instid0(VALU_DEP_3) | instskip(SKIP_1) | instid1(VALU_DEP_4)
	v_dual_mul_f32 v172, 0x3dbcf732, v100 :: v_dual_add_f32 v75, v78, v75
	v_dual_mul_f32 v186, 0xbf7ba420, v108 :: v_dual_sub_f32 v169, v143, v169
	v_add_f32_e32 v139, v137, v133
	s_delay_alu instid0(VALU_DEP_4) | instskip(SKIP_3) | instid1(VALU_DEP_4)
	v_fmamk_f32 v191, v107, 0xbf65296c, v132
	v_mul_f32_e32 v168, 0x3ee437d1, v97
	v_dual_mul_f32 v187, 0xbe3c28d5, v109 :: v_dual_add_f32 v148, v172, v148
	v_sub_f32_e32 v149, v149, v173
	v_add_f32_e32 v139, v191, v139
	s_delay_alu instid0(VALU_DEP_4)
	v_dual_mul_f32 v183, 0xbf2c7751, v107 :: v_dual_add_f32 v82, v168, v82
	v_mul_f32_e32 v185, 0xbe3c28d5, v107
	v_sub_f32_e32 v78, v80, v171
	v_mul_f32_e32 v192, 0x3f65296c, v111
	v_add_f32_e32 v76, v170, v76
	v_dual_add_f32 v82, v82, v26 :: v_dual_mul_f32 v189, 0x3f2c7751, v109
	v_add_f32_e32 v77, v174, v77
	v_mul_f32_e32 v167, 0x3dbcf732, v117
	v_mul_f32_e32 v173, 0x3f763a35, v114
	s_delay_alu instid0(VALU_DEP_4) | instskip(SKIP_4) | instid1(VALU_DEP_4)
	v_add_f32_e32 v82, v148, v82
	v_dual_add_f32 v148, v176, v151 :: v_dual_mul_f32 v133, 0xbe8c1d8e, v125
	v_sub_f32_e32 v151, v159, v185
	v_mul_f32_e32 v171, 0xbe3c28d5, v113
	v_mul_f32_e32 v177, 0xbf06c442, v118
	v_dual_add_f32 v82, v148, v82 :: v_dual_fmamk_f32 v191, v109, 0x3f763a35, v133
	v_mul_f32_e32 v180, 0x3f6eb680, v104
	v_mul_f32_e32 v159, 0x3f3d2fb0, v121
	;; [unrolled: 1-line block ×4, first 2 shown]
	v_add_f32_e32 v191, v191, v139
	v_dual_mul_f32 v137, 0x3f2c7751, v115 :: v_dual_add_f32 v148, v180, v154
	v_mul_f32_e32 v139, 0x3f65296c, v118
	v_mul_f32_e32 v143, 0x3f7ee86f, v124
	s_delay_alu instid0(VALU_DEP_4) | instskip(SKIP_4) | instid1(VALU_DEP_4)
	v_add_f32_e32 v27, v196, v191
	v_add_f32_e32 v191, v68, v198
	v_add_f32_e32 v82, v148, v82
	v_mul_f32_e32 v190, 0x3ee437d1, v110
	v_dual_add_f32 v148, v184, v157 :: v_dual_add_f32 v75, v78, v75
	v_add_f32_e32 v169, v169, v191
	v_dual_sub_f32 v78, v144, v175 :: v_dual_mul_f32 v157, 0xbe8c1d8e, v117
	s_delay_alu instid0(VALU_DEP_3) | instskip(NEXT) | instid1(VALU_DEP_3)
	v_dual_add_f32 v82, v148, v82 :: v_dual_add_f32 v73, v163, v73
	v_dual_add_f32 v149, v149, v169 :: v_dual_fmamk_f32 v168, v110, 0x3dbcf732, v143
	v_add_f32_e32 v148, v166, v74
	s_delay_alu instid0(VALU_DEP_4) | instskip(NEXT) | instid1(VALU_DEP_4)
	v_add_f32_e32 v75, v78, v75
	v_add_f32_e32 v73, v67, v73
	s_delay_alu instid0(VALU_DEP_4) | instskip(SKIP_2) | instid1(VALU_DEP_4)
	v_add_f32_e32 v149, v152, v149
	v_sub_f32_e32 v152, v156, v181
	v_fmamk_f32 v194, v102, 0x3f3d2fb0, v137
	v_dual_sub_f32 v78, v146, v179 :: v_dual_add_f32 v73, v148, v73
	v_sub_f32_e32 v144, v162, v197
	s_delay_alu instid0(VALU_DEP_4) | instskip(NEXT) | instid1(VALU_DEP_4)
	v_add_f32_e32 v149, v152, v149
	v_dual_add_f32 v193, v194, v193 :: v_dual_fmamk_f32 v194, v104, 0xbf1a4643, v138
	v_mul_f32_e32 v182, 0x3f3d2fb0, v106
	s_delay_alu instid0(VALU_DEP_3) | instskip(SKIP_1) | instid1(VALU_DEP_4)
	v_dual_mul_f32 v195, 0xbe8c1d8e, v110 :: v_dual_add_f32 v80, v151, v149
	v_sub_f32_e32 v149, v161, v189
	v_add_f32_e32 v193, v194, v193
	v_fmamk_f32 v194, v106, 0x3ee437d1, v139
	v_add_f32_e32 v76, v76, v73
	v_add_f32_e32 v146, v188, v158
	;; [unrolled: 1-line block ×3, first 2 shown]
	v_mul_f32_e32 v158, 0xbf59a7d5, v119
	s_delay_alu instid0(VALU_DEP_4) | instskip(SKIP_3) | instid1(VALU_DEP_3)
	v_dual_add_f32 v75, v78, v75 :: v_dual_add_f32 v76, v77, v76
	v_add_f32_e32 v77, v178, v79
	v_dual_sub_f32 v78, v150, v183 :: v_dual_sub_f32 v79, v155, v192
	v_dual_add_f32 v74, v144, v80 :: v_dual_add_f32 v81, v182, v81
	v_dual_add_f32 v77, v77, v76 :: v_dual_add_f32 v80, v146, v82
	s_delay_alu instid0(VALU_DEP_3) | instskip(SKIP_1) | instid1(VALU_DEP_3)
	v_dual_add_f32 v82, v195, v160 :: v_dual_add_f32 v75, v78, v75
	v_mul_f32_e32 v156, 0x3f06c442, v113
	v_add_f32_e32 v77, v81, v77
	s_delay_alu instid0(VALU_DEP_3) | instskip(SKIP_2) | instid1(VALU_DEP_3)
	v_dual_sub_f32 v78, v153, v187 :: v_dual_add_f32 v73, v82, v80
	v_fmamk_f32 v80, v99, 0xbf06c442, v158
	v_dual_mul_f32 v149, 0x3f6eb680, v125 :: v_dual_mul_f32 v154, 0x3f6eb680, v126
	v_add_f32_e32 v75, v78, v75
	v_add_f32_e32 v193, v194, v193
	v_mul_f32_e32 v155, 0xbf763a35, v112
	v_mul_f32_e32 v161, 0x3dbcf732, v123
	;; [unrolled: 1-line block ×3, first 2 shown]
	v_add_f32_e32 v76, v79, v75
	v_add_f32_e32 v79, v186, v147
	v_fmamk_f32 v78, v98, 0x3f763a35, v157
	v_mul_f32_e32 v147, 0xbeb8f4ab, v120
	v_add_f32_e32 v165, v165, v193
	v_mul_f32_e32 v163, 0xbf1a4643, v125
	s_delay_alu instid0(VALU_DEP_4)
	v_dual_add_f32 v77, v79, v77 :: v_dual_add_f32 v78, v68, v78
	v_fmamk_f32 v79, v96, 0xbe8c1d8e, v155
	v_fmamk_f32 v152, v108, 0x3f6eb680, v147
	;; [unrolled: 1-line block ×3, first 2 shown]
	v_add_f32_e32 v26, v168, v165
	v_dual_add_f32 v75, v80, v78 :: v_dual_fmamk_f32 v78, v101, 0xbf2c7751, v159
	v_dual_add_f32 v79, v67, v79 :: v_dual_mul_f32 v160, 0x3ee437d1, v126
	v_dual_fmamk_f32 v80, v97, 0xbf59a7d5, v156 :: v_dual_add_f32 v81, v190, v145
	s_delay_alu instid0(VALU_DEP_3) | instskip(SKIP_1) | instid1(VALU_DEP_3)
	v_add_f32_e32 v75, v78, v75
	v_mul_f32_e32 v168, 0xbf1a4643, v127
	v_dual_fmamk_f32 v78, v103, 0x3f65296c, v160 :: v_dual_add_f32 v79, v80, v79
	v_mul_f32_e32 v166, 0xbf7ba420, v122
	v_mul_f32_e32 v148, 0x3f2c7751, v114
	s_delay_alu instid0(VALU_DEP_3) | instskip(SKIP_1) | instid1(VALU_DEP_4)
	v_dual_mul_f32 v146, 0x3f7ee86f, v118 :: v_dual_add_f32 v75, v78, v75
	v_mul_f32_e32 v162, 0xbf4c4adb, v124
	v_fmamk_f32 v78, v105, 0x3e3c28d5, v166
	s_delay_alu instid0(VALU_DEP_4)
	v_fmamk_f32 v80, v100, 0x3f3d2fb0, v148
	v_mul_f32_e32 v151, 0xbe8c1d8e, v121
	v_mul_f32_e32 v169, 0xbf7ee86f, v112
	;; [unrolled: 1-line block ×3, first 2 shown]
	v_dual_add_f32 v75, v78, v75 :: v_dual_fmamk_f32 v78, v107, 0xbf7ee86f, v161
	v_dual_add_f32 v79, v80, v79 :: v_dual_fmamk_f32 v80, v102, 0x3ee437d1, v144
	v_mul_f32_e32 v176, 0x3ee437d1, v117
	v_mul_f32_e32 v150, 0xbf7ba420, v119
	s_delay_alu instid0(VALU_DEP_4) | instskip(SKIP_2) | instid1(VALU_DEP_4)
	v_dual_add_f32 v78, v78, v75 :: v_dual_add_f32 v75, v81, v77
	v_mul_f32_e32 v192, 0xbf59a7d5, v127
	v_mul_f32_e32 v182, 0xbf65296c, v112
	v_fmamk_f32 v81, v99, 0x3e3c28d5, v150
	s_delay_alu instid0(VALU_DEP_4) | instskip(SKIP_3) | instid1(VALU_DEP_3)
	v_dual_add_f32 v77, v82, v78 :: v_dual_fmamk_f32 v82, v111, 0x3f4c4adb, v168
	v_dual_mul_f32 v145, 0xbe3c28d5, v116 :: v_dual_add_f32 v78, v80, v79
	v_mul_f32_e32 v193, 0x3dbcf732, v119
	v_dual_mul_f32 v194, 0xbf7ee86f, v120 :: v_dual_mul_f32 v201, 0xbf7ee86f, v113
	v_fmamk_f32 v79, v104, 0xbf7ba420, v145
	v_fmamk_f32 v197, v111, 0x3f06c442, v192
	v_mul_f32_e32 v179, 0xbf1a4643, v119
	v_mul_f32_e32 v180, 0x3f4c4adb, v120
	s_delay_alu instid0(VALU_DEP_4)
	v_dual_mul_f32 v183, 0x3f2c7751, v124 :: v_dual_add_f32 v78, v79, v78
	v_fmamk_f32 v79, v106, 0x3dbcf732, v146
	v_mul_f32_e32 v199, 0xbf7ba420, v126
	v_fmamk_f32 v153, v99, 0x3f4c4adb, v179
	v_mul_f32_e32 v186, 0x3e3c28d5, v114
	v_dual_fmamk_f32 v165, v108, 0xbf1a4643, v180 :: v_dual_mul_f32 v196, 0xbf1a4643, v121
	v_dual_add_f32 v79, v79, v78 :: v_dual_add_f32 v78, v82, v77
	v_fmamk_f32 v82, v97, 0xbf7ba420, v171
	v_dual_mul_f32 v187, 0x3dbcf732, v125 :: v_dual_fmamk_f32 v198, v108, 0x3dbcf732, v194
	s_delay_alu instid0(VALU_DEP_3)
	v_dual_add_f32 v77, v152, v79 :: v_dual_fmamk_f32 v152, v110, 0xbf1a4643, v162
	v_fmamk_f32 v80, v98, 0x3f7ee86f, v167
	v_mul_f32_e32 v184, 0xbf4c4adb, v113
	v_mul_f32_e32 v190, 0x3f2c7751, v116
	v_fmamk_f32 v189, v110, 0x3f3d2fb0, v183
	v_add_f32_e32 v77, v152, v77
	v_mul_f32_e32 v152, 0xbf7ba420, v121
	v_dual_add_f32 v80, v68, v80 :: v_dual_fmamk_f32 v195, v99, 0x3f7ee86f, v193
	v_mul_f32_e32 v188, 0x3f763a35, v115
	v_fmamk_f32 v203, v97, 0x3dbcf732, v201
	s_delay_alu instid0(VALU_DEP_4) | instskip(SKIP_4) | instid1(VALU_DEP_4)
	v_fmamk_f32 v181, v101, 0xbe3c28d5, v152
	v_mul_f32_e32 v178, 0x3f3d2fb0, v127
	v_dual_add_f32 v80, v81, v80 :: v_dual_mul_f32 v119, 0x3f3d2fb0, v119
	v_mul_f32_e32 v121, 0x3ee437d1, v121
	v_mul_f32_e32 v210, 0x3f65296c, v120
	v_fmamk_f32 v164, v111, 0xbf2c7751, v178
	v_fmamk_f32 v81, v101, 0xbf763a35, v151
	v_mul_f32_e32 v185, 0x3f6eb680, v123
	v_fmamk_f32 v211, v99, 0x3f2c7751, v119
	v_fmac_f32_e32 v132, 0x3f65296c, v107
	v_fmac_f32_e32 v129, 0x3f2c7751, v103
	v_add_f32_e32 v79, v81, v80
	v_fmamk_f32 v81, v96, 0x3dbcf732, v169
	v_dual_fmamk_f32 v80, v103, 0xbeb8f4ab, v154 :: v_dual_fmac_f32 v149, 0xbeb8f4ab, v109
	v_dual_mul_f32 v202, 0xbe8c1d8e, v123 :: v_dual_add_f32 v45, v45, v68
	s_delay_alu instid0(VALU_DEP_3) | instskip(NEXT) | instid1(VALU_DEP_3)
	v_add_f32_e32 v81, v67, v81
	v_dual_add_f32 v79, v80, v79 :: v_dual_mul_f32 v208, 0x3f06c442, v116
	s_delay_alu instid0(VALU_DEP_3) | instskip(NEXT) | instid1(VALU_DEP_3)
	v_dual_add_f32 v44, v44, v67 :: v_dual_add_f32 v45, v47, v45
	v_dual_add_f32 v81, v82, v81 :: v_dual_fmamk_f32 v82, v100, 0xbe8c1d8e, v173
	v_mul_f32_e32 v170, 0x3ee437d1, v122
	s_delay_alu instid0(VALU_DEP_3) | instskip(NEXT) | instid1(VALU_DEP_3)
	v_dual_add_f32 v44, v46, v44 :: v_dual_add_f32 v37, v37, v45
	v_dual_fmac_f32 v130, 0x3eb8f4ab, v99 :: v_dual_add_f32 v81, v82, v81
	s_delay_alu instid0(VALU_DEP_3) | instskip(SKIP_1) | instid1(VALU_DEP_4)
	v_fmamk_f32 v80, v105, 0x3f65296c, v170
	v_fmamk_f32 v82, v102, 0x3f6eb680, v174
	v_dual_add_f32 v36, v36, v44 :: v_dual_add_f32 v37, v39, v37
	s_delay_alu instid0(VALU_DEP_3) | instskip(SKIP_1) | instid1(VALU_DEP_3)
	v_dual_mul_f32 v44, 0xbeb8f4ab, v112 :: v_dual_add_f32 v79, v80, v79
	v_fmamk_f32 v80, v107, 0x3f06c442, v172
	v_dual_add_f32 v36, v38, v36 :: v_dual_mul_f32 v45, 0xbf1a4643, v123
	s_delay_alu instid0(VALU_DEP_4) | instskip(SKIP_1) | instid1(VALU_DEP_4)
	v_add_f32_e32 v37, v41, v37
	v_mul_f32_e32 v41, 0xbf2c7751, v113
	v_dual_add_f32 v79, v80, v79 :: v_dual_fmamk_f32 v80, v109, 0xbf4c4adb, v163
	s_delay_alu instid0(VALU_DEP_4) | instskip(SKIP_2) | instid1(VALU_DEP_4)
	v_add_f32_e32 v36, v40, v36
	v_mul_f32_e32 v40, 0xbf59a7d5, v125
	v_add_f32_e32 v37, v43, v37
	v_dual_fmac_f32 v128, 0xbf06c442, v101 :: v_dual_add_f32 v79, v80, v79
	v_dual_add_f32 v80, v82, v81 :: v_dual_fmamk_f32 v81, v104, 0x3ee437d1, v175
	v_add_f32_e32 v36, v42, v36
	v_fmamk_f32 v42, v109, 0x3f06c442, v40
	v_mul_f32_e32 v47, 0x3eb8f4ab, v124
	v_add_f32_e32 v33, v33, v37
	v_dual_add_f32 v80, v81, v80 :: v_dual_fmamk_f32 v81, v106, 0xbf59a7d5, v177
	v_add_f32_e32 v32, v32, v36
	v_mul_f32_e32 v36, 0xbf7ee86f, v115
	s_delay_alu instid0(VALU_DEP_4) | instskip(NEXT) | instid1(VALU_DEP_4)
	v_dual_fmamk_f32 v46, v110, 0x3f6eb680, v47 :: v_dual_add_f32 v33, v35, v33
	v_dual_add_f32 v81, v81, v80 :: v_dual_add_f32 v80, v164, v79
	v_fmamk_f32 v164, v96, 0x3ee437d1, v182
	v_dual_add_f32 v32, v34, v32 :: v_dual_fmamk_f32 v39, v107, 0x3f4c4adb, v45
	s_delay_alu instid0(VALU_DEP_3) | instskip(NEXT) | instid1(VALU_DEP_3)
	v_dual_add_f32 v79, v165, v81 :: v_dual_fmamk_f32 v82, v98, 0x3f65296c, v176
	v_dual_add_f32 v164, v67, v164 :: v_dual_fmamk_f32 v165, v97, 0xbf1a4643, v184
	s_delay_alu instid0(VALU_DEP_2) | instskip(NEXT) | instid1(VALU_DEP_3)
	v_dual_add_f32 v28, v28, v32 :: v_dual_add_f32 v79, v189, v79
	v_dual_add_f32 v82, v68, v82 :: v_dual_mul_f32 v189, 0x3f3d2fb0, v117
	s_delay_alu instid0(VALU_DEP_3) | instskip(NEXT) | instid1(VALU_DEP_2)
	v_dual_add_f32 v164, v165, v164 :: v_dual_fmamk_f32 v165, v100, 0xbf7ba420, v186
	v_dual_mul_f32 v117, 0x3f6eb680, v117 :: v_dual_add_f32 v82, v153, v82
	v_mul_f32_e32 v153, 0xbe8c1d8e, v126
	v_mul_f32_e32 v126, 0x3dbcf732, v126
	s_delay_alu instid0(VALU_DEP_4) | instskip(NEXT) | instid1(VALU_DEP_3)
	v_dual_add_f32 v164, v165, v164 :: v_dual_fmamk_f32 v165, v102, 0xbe8c1d8e, v188
	v_dual_add_f32 v81, v181, v82 :: v_dual_fmamk_f32 v82, v103, 0xbf763a35, v153
	v_mul_f32_e32 v181, 0x3f3d2fb0, v122
	v_fmamk_f32 v209, v98, 0x3eb8f4ab, v117
	v_mul_f32_e32 v204, 0xbf4c4adb, v114
	v_add_f32_e32 v28, v30, v28
	s_delay_alu instid0(VALU_DEP_4) | instskip(NEXT) | instid1(VALU_DEP_4)
	v_dual_add_f32 v81, v82, v81 :: v_dual_fmamk_f32 v82, v105, 0xbf2c7751, v181
	v_dual_add_f32 v209, v68, v209 :: v_dual_mul_f32 v206, 0xbe3c28d5, v115
	s_delay_alu instid0(VALU_DEP_3) | instskip(NEXT) | instid1(VALU_DEP_3)
	v_dual_fmamk_f32 v43, v97, 0x3f3d2fb0, v41 :: v_dual_add_f32 v24, v24, v28
	v_dual_add_f32 v81, v82, v81 :: v_dual_fmamk_f32 v82, v107, 0x3eb8f4ab, v185
	s_delay_alu instid0(VALU_DEP_3)
	v_add_f32_e32 v209, v211, v209
	v_fmamk_f32 v211, v101, 0x3f65296c, v121
	v_fmamk_f32 v213, v108, 0x3ee437d1, v210
	v_dual_mul_f32 v37, 0xbf65296c, v114 :: v_dual_add_f32 v24, v53, v24
	v_dual_add_f32 v81, v82, v81 :: v_dual_fmamk_f32 v82, v109, 0x3f7ee86f, v187
	v_add_f32_e32 v29, v29, v33
	s_delay_alu instid0(VALU_DEP_3) | instskip(SKIP_1) | instid1(VALU_DEP_4)
	v_dual_fmamk_f32 v35, v100, 0x3ee437d1, v37 :: v_dual_add_f32 v24, v51, v24
	v_fmamk_f32 v34, v102, 0x3dbcf732, v36
	v_dual_add_f32 v81, v82, v81 :: v_dual_add_f32 v82, v165, v164
	v_fmamk_f32 v165, v98, 0x3f2c7751, v189
	v_dual_fmamk_f32 v164, v104, 0x3f3d2fb0, v190 :: v_dual_add_f32 v29, v31, v29
	v_fmac_f32_e32 v176, 0xbf65296c, v98
	s_delay_alu instid0(VALU_DEP_3) | instskip(NEXT) | instid1(VALU_DEP_3)
	v_dual_fmac_f32 v178, 0x3f2c7751, v111 :: v_dual_add_f32 v165, v68, v165
	v_add_f32_e32 v82, v164, v82
	v_fmac_f32_e32 v172, 0xbf06c442, v107
	v_fma_f32 v37, 0x3ee437d1, v100, -v37
	v_fma_f32 v51, 0x3dbcf732, v97, -v201
	v_add_f32_e32 v165, v195, v165
	v_fmamk_f32 v195, v101, 0x3f4c4adb, v196
	v_mul_f32_e32 v191, 0xbeb8f4ab, v118
	v_fma_f32 v36, 0x3dbcf732, v102, -v36
	v_fmac_f32_e32 v158, 0x3f06c442, v99
	v_fmac_f32_e32 v160, 0xbf65296c, v103
	;; [unrolled: 1-line block ×3, first 2 shown]
	v_fmamk_f32 v164, v106, 0x3f6eb680, v191
	v_fmac_f32_e32 v134, 0x3f7ee86f, v111
	v_fmac_f32_e32 v150, 0xbe3c28d5, v99
	;; [unrolled: 1-line block ×4, first 2 shown]
	v_add_f32_e32 v164, v164, v82
	v_dual_add_f32 v82, v197, v81 :: v_dual_mul_f32 v197, 0xbf2c7751, v112
	v_fmac_f32_e32 v153, 0x3f763a35, v103
	v_fmac_f32_e32 v179, 0xbf4c4adb, v99
	s_delay_alu instid0(VALU_DEP_4)
	v_add_f32_e32 v81, v198, v164
	v_fmac_f32_e32 v163, 0x3f4c4adb, v109
	v_fmamk_f32 v200, v96, 0x3f3d2fb0, v197
	v_fmac_f32_e32 v189, 0xbf2c7751, v98
	v_fmac_f32_e32 v181, 0x3f2c7751, v105
	;; [unrolled: 1-line block ×3, first 2 shown]
	s_delay_alu instid0(VALU_DEP_4) | instskip(SKIP_1) | instid1(VALU_DEP_2)
	v_dual_fmac_f32 v187, 0xbf7ee86f, v109 :: v_dual_add_f32 v200, v67, v200
	v_fmac_f32_e32 v117, 0xbeb8f4ab, v98
	v_dual_fmac_f32 v45, 0xbf4c4adb, v107 :: v_dual_add_f32 v200, v203, v200
	v_add_f32_e32 v164, v195, v165
	v_fmamk_f32 v165, v103, 0x3e3c28d5, v199
	v_mul_f32_e32 v195, 0xbf59a7d5, v122
	v_mul_f32_e32 v198, 0xbf06c442, v124
	;; [unrolled: 1-line block ×3, first 2 shown]
	v_fmac_f32_e32 v192, 0xbf06c442, v111
	v_add_f32_e32 v164, v165, v164
	v_fmamk_f32 v165, v105, 0xbf06c442, v195
	v_fmamk_f32 v207, v110, 0xbf59a7d5, v198
	v_fmac_f32_e32 v152, 0x3e3c28d5, v101
	v_fmac_f32_e32 v199, 0xbe3c28d5, v103
	s_delay_alu instid0(VALU_DEP_4)
	v_dual_fmac_f32 v193, 0xbf7ee86f, v99 :: v_dual_add_f32 v164, v165, v164
	v_fmamk_f32 v165, v107, 0xbf763a35, v202
	v_add_f32_e32 v81, v207, v81
	v_mul_f32_e32 v207, 0x3f6eb680, v127
	v_fmac_f32_e32 v195, 0x3f06c442, v105
	v_fmac_f32_e32 v202, 0x3f763a35, v107
	v_dual_add_f32 v164, v165, v164 :: v_dual_fmamk_f32 v203, v100, 0xbf1a4643, v204
	v_mul_f32_e32 v205, 0x3ee437d1, v125
	v_fmamk_f32 v212, v111, 0xbeb8f4ab, v207
	s_delay_alu instid0(VALU_DEP_3) | instskip(NEXT) | instid1(VALU_DEP_3)
	v_dual_fmac_f32 v207, 0x3eb8f4ab, v111 :: v_dual_add_f32 v200, v203, v200
	v_fmamk_f32 v165, v109, 0xbf65296c, v205
	v_fmamk_f32 v203, v102, 0xbf7ba420, v206
	v_fmac_f32_e32 v205, 0x3f65296c, v109
	v_fmac_f32_e32 v196, 0xbf4c4adb, v101
	s_delay_alu instid0(VALU_DEP_4) | instskip(NEXT) | instid1(VALU_DEP_4)
	v_add_f32_e32 v164, v165, v164
	v_add_f32_e32 v165, v203, v200
	v_mul_f32_e32 v203, 0x3f763a35, v118
	v_fmamk_f32 v200, v104, 0xbf59a7d5, v208
	s_delay_alu instid0(VALU_DEP_1) | instskip(NEXT) | instid1(VALU_DEP_1)
	v_dual_add_f32 v165, v200, v165 :: v_dual_fmamk_f32 v200, v106, 0xbe8c1d8e, v203
	v_add_f32_e32 v200, v200, v165
	v_add_f32_e32 v165, v212, v164
	s_delay_alu instid0(VALU_DEP_2) | instskip(SKIP_3) | instid1(VALU_DEP_4)
	v_add_f32_e32 v164, v213, v200
	v_add_f32_e32 v200, v211, v209
	v_fmamk_f32 v209, v103, 0x3f7ee86f, v126
	v_fmac_f32_e32 v126, 0xbf7ee86f, v103
	v_dual_add_f32 v164, v46, v164 :: v_dual_fmac_f32 v119, 0xbf2c7751, v99
	s_delay_alu instid0(VALU_DEP_3) | instskip(SKIP_1) | instid1(VALU_DEP_1)
	v_add_f32_e32 v200, v209, v200
	v_fmamk_f32 v209, v105, 0x3f763a35, v122
	v_dual_fmac_f32 v122, 0xbf763a35, v105 :: v_dual_add_f32 v123, v209, v200
	s_delay_alu instid0(VALU_DEP_1) | instskip(SKIP_1) | instid1(VALU_DEP_2)
	v_dual_add_f32 v38, v39, v123 :: v_dual_fmamk_f32 v39, v96, 0x3f6eb680, v44
	v_fma_f32 v44, 0x3f6eb680, v96, -v44
	v_dual_fmac_f32 v121, 0xbf65296c, v101 :: v_dual_add_f32 v38, v42, v38
	s_delay_alu instid0(VALU_DEP_3) | instskip(SKIP_3) | instid1(VALU_DEP_4)
	v_dual_add_f32 v39, v67, v39 :: v_dual_mul_f32 v42, 0xbf06c442, v120
	v_add_f32_e32 v25, v25, v29
	v_fmac_f32_e32 v40, 0xbf06c442, v109
	v_add_f32_e32 v44, v67, v44
	v_add_f32_e32 v39, v43, v39
	v_fma_f32 v43, 0xbf59a7d5, v106, -v177
	s_delay_alu instid0(VALU_DEP_2) | instskip(NEXT) | instid1(VALU_DEP_1)
	v_add_f32_e32 v33, v35, v39
	v_dual_add_f32 v31, v34, v33 :: v_dual_mul_f32 v34, 0xbf4c4adb, v118
	v_fma_f32 v33, 0xbf7ba420, v97, -v171
	v_fmac_f32_e32 v151, 0x3f763a35, v101
	v_fmac_f32_e32 v167, 0xbf7ee86f, v98
	s_delay_alu instid0(VALU_DEP_4) | instskip(SKIP_2) | instid1(VALU_DEP_2)
	v_fmamk_f32 v28, v106, 0xbf1a4643, v34
	v_mul_f32_e32 v35, 0xbf763a35, v116
	v_fma_f32 v34, 0xbf1a4643, v106, -v34
	v_fmamk_f32 v32, v104, 0xbe8c1d8e, v35
	s_delay_alu instid0(VALU_DEP_1) | instskip(SKIP_3) | instid1(VALU_DEP_4)
	v_dual_add_f32 v30, v32, v31 :: v_dual_add_f32 v31, v54, v25
	v_fma_f32 v32, 0xbf59a7d5, v97, -v156
	v_fmac_f32_e32 v133, 0xbf763a35, v109
	v_fma_f32 v41, 0x3f3d2fb0, v97, -v41
	v_add_f32_e32 v28, v28, v30
	v_fmamk_f32 v30, v108, 0xbf59a7d5, v42
	v_mul_f32_e32 v39, 0xbf7ba420, v127
	v_fma_f32 v35, 0xbe8c1d8e, v104, -v35
	v_add_f32_e32 v41, v41, v44
	s_delay_alu instid0(VALU_DEP_3) | instskip(SKIP_1) | instid1(VALU_DEP_3)
	v_dual_add_f32 v28, v30, v28 :: v_dual_fmamk_f32 v29, v111, 0x3e3c28d5, v39
	v_fmac_f32_e32 v39, 0xbe3c28d5, v111
	v_add_f32_e32 v37, v37, v41
	s_delay_alu instid0(VALU_DEP_3) | instskip(SKIP_1) | instid1(VALU_DEP_3)
	v_add_f32_e32 v25, v29, v38
	v_dual_add_f32 v29, v52, v31 :: v_dual_mul_f32 v38, 0xbe3c28d5, v124
	v_add_f32_e32 v36, v36, v37
	s_delay_alu instid0(VALU_DEP_2) | instskip(NEXT) | instid1(VALU_DEP_2)
	v_add_f32_e32 v29, v50, v29
	v_dual_fmamk_f32 v30, v110, 0xbf7ba420, v38 :: v_dual_add_f32 v35, v35, v36
	v_fma_f32 v38, 0xbf7ba420, v110, -v38
	s_delay_alu instid0(VALU_DEP_3) | instskip(SKIP_1) | instid1(VALU_DEP_4)
	v_add_f32_e32 v1, v1, v29
	v_add_f32_e32 v29, v49, v24
	v_dual_fmac_f32 v135, 0xbe3c28d5, v98 :: v_dual_add_f32 v24, v30, v28
	v_fma_f32 v28, 0xbf7ba420, v96, -v141
	v_fma_f32 v30, 0xbe8c1d8e, v108, -v140
	s_delay_alu instid0(VALU_DEP_4) | instskip(NEXT) | instid1(VALU_DEP_4)
	v_add_f32_e32 v0, v0, v29
	v_add_f32_e32 v31, v68, v135
	v_fma_f32 v29, 0x3f6eb680, v97, -v142
	v_dual_add_f32 v28, v67, v28 :: v_dual_fmac_f32 v131, 0xbf4c4adb, v105
	s_delay_alu instid0(VALU_DEP_4) | instskip(NEXT) | instid1(VALU_DEP_4)
	v_dual_add_f32 v0, v2, v0 :: v_dual_add_f32 v1, v3, v1
	v_add_f32_e32 v3, v130, v31
	v_fma_f32 v49, 0xbf1a4643, v97, -v184
	v_add_f32_e32 v34, v34, v35
	v_fma_f32 v35, 0xbf59a7d5, v108, -v42
	v_and_b32_e32 v42, 0xffff, v87
	v_dual_add_f32 v2, v128, v3 :: v_dual_add_f32 v3, v29, v28
	v_fma_f32 v28, 0xbf59a7d5, v100, -v136
	s_delay_alu instid0(VALU_DEP_3) | instskip(NEXT) | instid1(VALU_DEP_2)
	v_lshl_add_u32 v42, v42, 3, v86
	v_dual_add_f32 v2, v129, v2 :: v_dual_add_f32 v3, v28, v3
	v_fma_f32 v28, 0x3f3d2fb0, v102, -v137
	s_delay_alu instid0(VALU_DEP_1) | instskip(SKIP_1) | instid1(VALU_DEP_1)
	v_add_f32_e32 v3, v28, v3
	v_fma_f32 v28, 0xbf1a4643, v104, -v138
	v_add_f32_e32 v3, v28, v3
	v_fma_f32 v28, 0x3ee437d1, v106, -v139
	s_delay_alu instid0(VALU_DEP_1) | instskip(NEXT) | instid1(VALU_DEP_1)
	v_dual_fmac_f32 v157, 0xbf763a35, v98 :: v_dual_add_f32 v28, v28, v3
	v_add_f32_e32 v28, v30, v28
	v_add_f32_e32 v2, v131, v2
	v_fma_f32 v30, 0x3dbcf732, v110, -v143
	s_delay_alu instid0(VALU_DEP_2) | instskip(NEXT) | instid1(VALU_DEP_1)
	v_dual_fmac_f32 v159, 0x3f2c7751, v101 :: v_dual_add_f32 v2, v132, v2
	v_dual_add_f32 v29, v68, v157 :: v_dual_add_f32 v2, v133, v2
	s_delay_alu instid0(VALU_DEP_1) | instskip(NEXT) | instid1(VALU_DEP_2)
	v_add_f32_e32 v29, v158, v29
	v_add_f32_e32 v3, v134, v2
	v_fma_f32 v2, 0xbe8c1d8e, v96, -v155
	s_delay_alu instid0(VALU_DEP_1) | instskip(NEXT) | instid1(VALU_DEP_1)
	v_dual_add_f32 v31, v67, v2 :: v_dual_add_f32 v2, v30, v28
	v_dual_add_f32 v29, v159, v29 :: v_dual_add_f32 v30, v32, v31
	v_fma_f32 v31, 0x3f3d2fb0, v100, -v148
	s_delay_alu instid0(VALU_DEP_2) | instskip(SKIP_1) | instid1(VALU_DEP_3)
	v_add_f32_e32 v29, v160, v29
	v_add_f32_e32 v32, v68, v167
	v_dual_fmac_f32 v161, 0x3f7ee86f, v107 :: v_dual_add_f32 v30, v31, v30
	s_delay_alu instid0(VALU_DEP_3) | instskip(SKIP_1) | instid1(VALU_DEP_2)
	v_add_f32_e32 v29, v166, v29
	v_fma_f32 v31, 0x3ee437d1, v102, -v144
	v_dual_add_f32 v32, v150, v32 :: v_dual_add_f32 v29, v161, v29
	s_delay_alu instid0(VALU_DEP_2) | instskip(SKIP_1) | instid1(VALU_DEP_3)
	v_add_f32_e32 v30, v31, v30
	v_fma_f32 v31, 0xbf7ba420, v104, -v145
	v_add_f32_e32 v28, v149, v29
	s_delay_alu instid0(VALU_DEP_2) | instskip(SKIP_1) | instid1(VALU_DEP_3)
	v_add_f32_e32 v30, v31, v30
	v_fma_f32 v31, 0x3dbcf732, v106, -v146
	v_add_f32_e32 v29, v168, v28
	v_fma_f32 v28, 0x3dbcf732, v96, -v169
	s_delay_alu instid0(VALU_DEP_3) | instskip(SKIP_1) | instid1(VALU_DEP_3)
	v_add_f32_e32 v30, v31, v30
	v_fma_f32 v31, 0x3f6eb680, v108, -v147
	v_add_f32_e32 v28, v67, v28
	s_delay_alu instid0(VALU_DEP_2) | instskip(SKIP_1) | instid1(VALU_DEP_3)
	v_add_f32_e32 v30, v31, v30
	v_fma_f32 v31, 0xbf1a4643, v110, -v162
	v_add_f32_e32 v28, v33, v28
	v_fma_f32 v33, 0xbe8c1d8e, v100, -v173
	v_add_f32_e32 v32, v151, v32
	s_delay_alu instid0(VALU_DEP_2) | instskip(SKIP_1) | instid1(VALU_DEP_3)
	v_add_f32_e32 v28, v33, v28
	v_fma_f32 v33, 0x3f6eb680, v102, -v174
	v_add_f32_e32 v32, v154, v32
	s_delay_alu instid0(VALU_DEP_2) | instskip(SKIP_1) | instid1(VALU_DEP_1)
	v_add_f32_e32 v28, v33, v28
	v_fma_f32 v33, 0x3ee437d1, v104, -v175
	v_dual_fmac_f32 v170, 0xbf65296c, v105 :: v_dual_add_f32 v33, v33, v28
	s_delay_alu instid0(VALU_DEP_1) | instskip(SKIP_1) | instid1(VALU_DEP_2)
	v_add_f32_e32 v32, v170, v32
	v_add_f32_e32 v28, v31, v30
	;; [unrolled: 1-line block ×3, first 2 shown]
	s_delay_alu instid0(VALU_DEP_1) | instskip(SKIP_3) | instid1(VALU_DEP_4)
	v_add_f32_e32 v30, v163, v32
	v_add_f32_e32 v32, v43, v33
	v_fma_f32 v33, 0xbf1a4643, v108, -v180
	v_add_f32_e32 v43, v68, v176
	v_add_f32_e32 v31, v178, v30
	v_fma_f32 v30, 0x3ee437d1, v96, -v182
	s_delay_alu instid0(VALU_DEP_4) | instskip(SKIP_2) | instid1(VALU_DEP_4)
	v_add_f32_e32 v32, v33, v32
	v_fma_f32 v33, 0x3f3d2fb0, v110, -v183
	v_add_f32_e32 v43, v179, v43
	v_add_f32_e32 v46, v67, v30
	s_delay_alu instid0(VALU_DEP_3) | instskip(NEXT) | instid1(VALU_DEP_3)
	v_add_f32_e32 v30, v33, v32
	v_add_f32_e32 v32, v152, v43
	v_fma_f32 v43, 0xbf7ba420, v100, -v186
	s_delay_alu instid0(VALU_DEP_4) | instskip(SKIP_1) | instid1(VALU_DEP_2)
	v_add_f32_e32 v33, v49, v46
	v_fma_f32 v49, 0x3dbcf732, v108, -v194
	v_add_f32_e32 v33, v43, v33
	v_fma_f32 v43, 0xbe8c1d8e, v102, -v188
	s_delay_alu instid0(VALU_DEP_1) | instskip(SKIP_1) | instid1(VALU_DEP_1)
	v_add_f32_e32 v33, v43, v33
	v_fma_f32 v43, 0x3f3d2fb0, v104, -v190
	v_add_f32_e32 v33, v43, v33
	v_fma_f32 v43, 0x3f6eb680, v106, -v191
	s_delay_alu instid0(VALU_DEP_1) | instskip(SKIP_1) | instid1(VALU_DEP_2)
	v_dual_add_f32 v32, v153, v32 :: v_dual_add_f32 v43, v43, v33
	v_add_f32_e32 v46, v68, v189
	v_add_f32_e32 v32, v181, v32
	s_delay_alu instid0(VALU_DEP_3) | instskip(NEXT) | instid1(VALU_DEP_3)
	v_add_f32_e32 v43, v49, v43
	v_add_f32_e32 v46, v193, v46
	s_delay_alu instid0(VALU_DEP_3) | instskip(SKIP_1) | instid1(VALU_DEP_3)
	v_add_f32_e32 v32, v185, v32
	v_fma_f32 v49, 0xbf59a7d5, v110, -v198
	v_add_f32_e32 v46, v196, v46
	s_delay_alu instid0(VALU_DEP_3) | instskip(NEXT) | instid1(VALU_DEP_1)
	v_add_f32_e32 v32, v187, v32
	v_dual_add_f32 v46, v199, v46 :: v_dual_add_f32 v33, v192, v32
	v_fma_f32 v32, 0x3f3d2fb0, v96, -v197
	s_delay_alu instid0(VALU_DEP_2) | instskip(NEXT) | instid1(VALU_DEP_2)
	v_add_f32_e32 v46, v195, v46
	v_add_f32_e32 v50, v67, v32
	;; [unrolled: 1-line block ×3, first 2 shown]
	v_fma_f32 v49, 0xbf1a4643, v100, -v204
	s_delay_alu instid0(VALU_DEP_4) | instskip(NEXT) | instid1(VALU_DEP_1)
	v_add_f32_e32 v46, v202, v46
	v_add_f32_e32 v43, v205, v46
	;; [unrolled: 1-line block ×4, first 2 shown]
	s_delay_alu instid0(VALU_DEP_2) | instskip(SKIP_1) | instid1(VALU_DEP_3)
	v_add_f32_e32 v46, v49, v46
	v_fma_f32 v49, 0xbf7ba420, v102, -v206
	v_add_f32_e32 v50, v119, v50
	s_delay_alu instid0(VALU_DEP_2) | instskip(SKIP_1) | instid1(VALU_DEP_3)
	v_add_f32_e32 v44, v49, v46
	v_fma_f32 v46, 0xbf59a7d5, v104, -v208
	v_add_f32_e32 v49, v121, v50
	;; [unrolled: 4-line block ×4, first 2 shown]
	s_delay_alu instid0(VALU_DEP_2) | instskip(NEXT) | instid1(VALU_DEP_2)
	v_add_f32_e32 v36, v41, v37
	v_add_f32_e32 v37, v45, v44
	v_fma_f32 v41, 0x3f6eb680, v110, -v47
	s_delay_alu instid0(VALU_DEP_2) | instskip(NEXT) | instid1(VALU_DEP_2)
	v_dual_add_f32 v37, v40, v37 :: v_dual_add_f32 v40, v35, v34
	v_dual_add_f32 v35, v207, v43 :: v_dual_add_f32 v34, v41, v36
	s_delay_alu instid0(VALU_DEP_2)
	v_dual_add_f32 v37, v39, v37 :: v_dual_add_f32 v36, v38, v40
	ds_store_2addr_b64 v42, v[0:1], v[24:25] offset1:1
	ds_store_2addr_b64 v42, v[164:165], v[81:82] offset0:2 offset1:3
	ds_store_2addr_b64 v42, v[79:80], v[77:78] offset0:4 offset1:5
	;; [unrolled: 1-line block ×7, first 2 shown]
	ds_store_b64 v42, v[36:37] offset:128
.LBB0_17:
	s_wait_alu 0xfffe
	s_or_b32 exec_lo, exec_lo, s1
	v_add_nc_u32_e32 v32, 0x800, v89
	global_wb scope:SCOPE_SE
	s_wait_dscnt 0x0
	s_barrier_signal -1
	s_barrier_wait -1
	global_inv scope:SCOPE_SE
	ds_load_2addr_b64 v[28:31], v89 offset1:34
	ds_load_2addr_b64 v[0:3], v89 offset0:136 offset1:187
	ds_load_2addr_b64 v[36:39], v89 offset0:221 offset1:255
	ds_load_2addr_b64 v[24:27], v89 offset0:68 offset1:102
	ds_load_2addr_b64 v[32:35], v32 offset0:33 offset1:67
	s_and_saveexec_b32 s1, s0
	s_cbranch_execz .LBB0_19
; %bb.18:
	ds_load_b64 v[69:70], v89 offset:1360
	ds_load_b64 v[71:72], v89 offset:2856
.LBB0_19:
	s_wait_alu 0xfffe
	s_or_b32 exec_lo, exec_lo, s1
	s_wait_dscnt 0x2
	v_dual_mul_f32 v40, v60, v3 :: v_dual_mul_f32 v43, v66, v36
	v_dual_mul_f32 v41, v60, v2 :: v_dual_mul_f32 v42, v66, v37
	v_mul_f32_e32 v44, v64, v39
	s_delay_alu instid0(VALU_DEP_3)
	v_fmac_f32_e32 v40, v59, v2
	global_wb scope:SCOPE_SE
	s_wait_dscnt 0x0
	v_fma_f32 v3, v59, v3, -v41
	v_dual_mul_f32 v41, v58, v35 :: v_dual_fmac_f32 v42, v65, v36
	v_fma_f32 v36, v65, v37, -v43
	v_mul_f32_e32 v43, v58, v34
	v_dual_mul_f32 v37, v62, v33 :: v_dual_mul_f32 v2, v64, v38
	v_dual_fmac_f32 v44, v63, v38 :: v_dual_sub_f32 v3, v29, v3
	v_dual_mul_f32 v38, v62, v32 :: v_dual_fmac_f32 v41, v57, v34
	s_delay_alu instid0(VALU_DEP_3) | instskip(NEXT) | instid1(VALU_DEP_4)
	v_fmac_f32_e32 v37, v61, v32
	v_fma_f32 v39, v63, v39, -v2
	v_sub_f32_e32 v2, v28, v40
	s_delay_alu instid0(VALU_DEP_4) | instskip(SKIP_3) | instid1(VALU_DEP_3)
	v_fma_f32 v38, v61, v33, -v38
	v_fma_f32 v40, v57, v35, -v43
	v_dual_sub_f32 v32, v30, v42 :: v_dual_sub_f32 v33, v31, v36
	v_dual_sub_f32 v34, v24, v44 :: v_dual_sub_f32 v35, v25, v39
	;; [unrolled: 1-line block ×4, first 2 shown]
	v_fma_f32 v28, v28, 2.0, -v2
	v_fma_f32 v29, v29, 2.0, -v3
	;; [unrolled: 1-line block ×10, first 2 shown]
	s_barrier_signal -1
	s_barrier_wait -1
	global_inv scope:SCOPE_SE
	ds_store_2addr_b64 v92, v[28:29], v[2:3] offset1:17
	ds_store_2addr_b64 v95, v[30:31], v[32:33] offset1:17
	;; [unrolled: 1-line block ×5, first 2 shown]
	s_and_saveexec_b32 s1, s0
	s_cbranch_execz .LBB0_21
; %bb.20:
	v_mul_f32_e32 v0, v56, v71
	v_mul_f32_e32 v2, v56, v72
	v_lshl_add_u32 v24, v90, 3, v86
	s_delay_alu instid0(VALU_DEP_3) | instskip(NEXT) | instid1(VALU_DEP_3)
	v_fma_f32 v0, v55, v72, -v0
	v_fmac_f32_e32 v2, v55, v71
	s_delay_alu instid0(VALU_DEP_3) | instskip(NEXT) | instid1(VALU_DEP_2)
	v_add_nc_u32_e32 v24, 0x800, v24
	v_dual_sub_f32 v1, v70, v0 :: v_dual_sub_f32 v0, v69, v2
	s_delay_alu instid0(VALU_DEP_1) | instskip(NEXT) | instid1(VALU_DEP_2)
	v_fma_f32 v3, v70, 2.0, -v1
	v_fma_f32 v2, v69, 2.0, -v0
	ds_store_2addr_b64 v24, v[2:3], v[0:1] offset0:84 offset1:101
.LBB0_21:
	s_wait_alu 0xfffe
	s_or_b32 exec_lo, exec_lo, s1
	global_wb scope:SCOPE_SE
	s_wait_dscnt 0x0
	s_barrier_signal -1
	s_barrier_wait -1
	global_inv scope:SCOPE_SE
	ds_load_2addr_b64 v[0:3], v89 offset1:34
	ds_load_2addr_b64 v[24:27], v89 offset0:68 offset1:102
	ds_load_b64 v[40:41], v89 offset:1088
	ds_load_2addr_b64 v[28:31], v89 offset0:170 offset1:204
	v_add_nc_u32_e32 v32, 0x400, v89
	v_add_nc_u32_e32 v36, 0x800, v89
	s_wait_dscnt 0x2
	v_dual_mul_f32 v42, v21, v3 :: v_dual_mul_f32 v43, v23, v25
	v_mul_f32_e32 v21, v21, v2
	v_mul_f32_e32 v23, v23, v24
	ds_load_2addr_b64 v[32:35], v32 offset0:110 offset1:144
	ds_load_2addr_b64 v[36:39], v36 offset0:50 offset1:84
	s_wait_dscnt 0x3
	v_dual_mul_f32 v44, v17, v27 :: v_dual_mul_f32 v45, v19, v41
	v_dual_mul_f32 v19, v19, v40 :: v_dual_fmac_f32 v42, v20, v2
	v_mul_f32_e32 v17, v17, v26
	v_fma_f32 v2, v20, v3, -v21
	s_delay_alu instid0(VALU_DEP_4) | instskip(SKIP_1) | instid1(VALU_DEP_4)
	v_dual_fmac_f32 v43, v22, v24 :: v_dual_fmac_f32 v44, v16, v26
	v_fma_f32 v20, v22, v25, -v23
	v_fma_f32 v16, v16, v27, -v17
	s_wait_dscnt 0x2
	v_mul_f32_e32 v17, v9, v29
	v_fmac_f32_e32 v45, v18, v40
	v_fma_f32 v18, v18, v41, -v19
	v_mul_f32_e32 v3, v9, v28
	v_add_f32_e32 v19, v0, v42
	v_add_f32_e32 v21, v1, v2
	v_mul_f32_e32 v9, v11, v31
	v_fmac_f32_e32 v17, v8, v28
	v_fma_f32 v8, v8, v29, -v3
	v_mul_f32_e32 v3, v11, v30
	v_add_f32_e32 v11, v19, v43
	v_add_f32_e32 v19, v21, v20
	s_wait_dscnt 0x1
	v_mul_f32_e32 v21, v5, v33
	v_mul_f32_e32 v5, v5, v32
	v_fmac_f32_e32 v9, v10, v30
	v_fma_f32 v10, v10, v31, -v3
	v_add_f32_e32 v3, v11, v44
	v_fmac_f32_e32 v21, v4, v32
	v_fma_f32 v4, v4, v33, -v5
	v_mul_f32_e32 v5, v7, v35
	v_mul_f32_e32 v7, v7, v34
	s_delay_alu instid0(VALU_DEP_2) | instskip(NEXT) | instid1(VALU_DEP_2)
	v_fmac_f32_e32 v5, v6, v34
	v_fma_f32 v6, v6, v35, -v7
	s_wait_dscnt 0x0
	v_mul_f32_e32 v7, v15, v38
	v_mul_f32_e32 v15, v15, v39
	s_delay_alu instid0(VALU_DEP_2) | instskip(NEXT) | instid1(VALU_DEP_2)
	v_fma_f32 v7, v14, v39, -v7
	v_fmac_f32_e32 v15, v14, v38
	s_delay_alu instid0(VALU_DEP_2) | instskip(NEXT) | instid1(VALU_DEP_2)
	v_add_f32_e32 v22, v2, v7
	v_add_f32_e32 v14, v42, v15
	s_delay_alu instid0(VALU_DEP_2) | instskip(SKIP_3) | instid1(VALU_DEP_3)
	v_dual_mul_f32 v30, 0xbe11bafb, v22 :: v_dual_add_f32 v11, v19, v16
	v_dual_mul_f32 v19, v13, v37 :: v_dual_mul_f32 v24, 0x3f575c64, v22
	v_mul_f32_e32 v27, 0x3ed4b147, v22
	v_mul_f32_e32 v34, 0xbf27a4f4, v22
	v_dual_mul_f32 v22, 0xbf75a155, v22 :: v_dual_fmac_f32 v19, v12, v36
	v_mul_f32_e32 v13, v13, v36
	v_add_f32_e32 v11, v11, v18
	s_delay_alu instid0(VALU_DEP_2) | instskip(NEXT) | instid1(VALU_DEP_1)
	v_fma_f32 v12, v12, v37, -v13
	v_dual_sub_f32 v13, v2, v7 :: v_dual_sub_f32 v38, v20, v12
	s_delay_alu instid0(VALU_DEP_1) | instskip(SKIP_2) | instid1(VALU_DEP_3)
	v_mul_f32_e32 v28, 0xbf7d64f0, v13
	v_mul_f32_e32 v33, 0xbf4178ce, v13
	v_add_f32_e32 v11, v11, v8
	v_fmamk_f32 v31, v14, 0xbe11bafb, v28
	v_fma_f32 v28, 0xbe11bafb, v14, -v28
	v_add_f32_e32 v3, v3, v45
	v_fmamk_f32 v35, v14, 0xbf27a4f4, v33
	v_add_f32_e32 v11, v11, v10
	v_add_f32_e32 v31, v0, v31
	v_dual_mul_f32 v23, 0xbf0a6770, v13 :: v_dual_add_f32 v28, v0, v28
	v_add_f32_e32 v3, v3, v17
	v_add_f32_e32 v35, v0, v35
	;; [unrolled: 1-line block ×3, first 2 shown]
	s_delay_alu instid0(VALU_DEP_4) | instskip(SKIP_4) | instid1(VALU_DEP_4)
	v_fmamk_f32 v25, v14, 0x3f575c64, v23
	v_fma_f32 v23, 0x3f575c64, v14, -v23
	v_add_f32_e32 v3, v3, v9
	v_fma_f32 v33, 0xbf27a4f4, v14, -v33
	v_add_f32_e32 v11, v11, v6
	v_add_f32_e32 v23, v0, v23
	s_delay_alu instid0(VALU_DEP_4) | instskip(NEXT) | instid1(VALU_DEP_4)
	v_add_f32_e32 v3, v3, v21
	v_add_f32_e32 v33, v0, v33
	s_delay_alu instid0(VALU_DEP_2) | instskip(NEXT) | instid1(VALU_DEP_1)
	v_add_f32_e32 v3, v3, v5
	v_add_f32_e32 v2, v3, v19
	;; [unrolled: 1-line block ×3, first 2 shown]
	v_dual_sub_f32 v11, v42, v15 :: v_dual_add_f32 v12, v20, v12
	v_mul_f32_e32 v20, 0xbf68dda4, v38
	s_delay_alu instid0(VALU_DEP_4) | instskip(NEXT) | instid1(VALU_DEP_4)
	v_add_f32_e32 v2, v2, v15
	v_add_f32_e32 v3, v3, v7
	s_delay_alu instid0(VALU_DEP_4) | instskip(SKIP_3) | instid1(VALU_DEP_4)
	v_fmamk_f32 v36, v11, 0x3f4178ce, v34
	v_fmamk_f32 v15, v11, 0x3f0a6770, v24
	v_fmac_f32_e32 v24, 0xbf0a6770, v11
	v_fmamk_f32 v29, v11, 0x3f68dda4, v27
	v_dual_fmac_f32 v27, 0xbf68dda4, v11 :: v_dual_add_f32 v36, v1, v36
	v_mul_f32_e32 v7, 0xbf68dda4, v13
	v_mul_f32_e32 v13, 0xbe903f40, v13
	v_fmamk_f32 v32, v11, 0x3f7d64f0, v30
	v_fmac_f32_e32 v30, 0xbf7d64f0, v11
	v_fmac_f32_e32 v34, 0xbf4178ce, v11
	v_fmamk_f32 v26, v14, 0x3ed4b147, v7
	v_fma_f32 v7, 0x3ed4b147, v14, -v7
	v_fmamk_f32 v37, v14, 0xbf75a155, v13
	v_fmamk_f32 v39, v11, 0x3e903f40, v22
	v_fma_f32 v13, 0xbf75a155, v14, -v13
	v_fmac_f32_e32 v22, 0xbe903f40, v11
	v_add_f32_e32 v14, v43, v19
	v_sub_f32_e32 v11, v43, v19
	v_mul_f32_e32 v19, 0x3ed4b147, v12
	v_add_f32_e32 v25, v0, v25
	v_add_f32_e32 v15, v1, v15
	;; [unrolled: 1-line block ×3, first 2 shown]
	v_dual_add_f32 v26, v0, v26 :: v_dual_add_f32 v29, v1, v29
	v_add_f32_e32 v7, v0, v7
	v_add_f32_e32 v27, v1, v27
	;; [unrolled: 1-line block ×4, first 2 shown]
	v_dual_add_f32 v34, v1, v34 :: v_dual_add_f32 v37, v0, v37
	v_dual_add_f32 v39, v1, v39 :: v_dual_fmamk_f32 v40, v14, 0x3ed4b147, v20
	v_dual_add_f32 v0, v0, v13 :: v_dual_add_f32 v1, v1, v22
	v_fmamk_f32 v13, v11, 0x3f68dda4, v19
	v_mul_f32_e32 v22, 0xbf4178ce, v38
	v_fma_f32 v20, 0x3ed4b147, v14, -v20
	v_fmac_f32_e32 v19, 0xbf68dda4, v11
	v_mul_f32_e32 v41, 0xbf75a155, v12
	v_add_f32_e32 v13, v13, v15
	s_delay_alu instid0(VALU_DEP_4) | instskip(SKIP_2) | instid1(VALU_DEP_2)
	v_dual_fmamk_f32 v15, v14, 0xbf27a4f4, v22 :: v_dual_add_f32 v20, v20, v23
	v_mul_f32_e32 v23, 0x3e903f40, v38
	v_fma_f32 v22, 0xbf27a4f4, v14, -v22
	v_dual_add_f32 v15, v15, v26 :: v_dual_fmamk_f32 v26, v14, 0xbf75a155, v23
	v_fma_f32 v23, 0xbf75a155, v14, -v23
	s_delay_alu instid0(VALU_DEP_2) | instskip(NEXT) | instid1(VALU_DEP_2)
	v_dual_add_f32 v26, v26, v31 :: v_dual_mul_f32 v31, 0xbe11bafb, v12
	v_add_f32_e32 v23, v23, v28
	s_delay_alu instid0(VALU_DEP_2) | instskip(SKIP_3) | instid1(VALU_DEP_4)
	v_dual_fmamk_f32 v28, v11, 0xbf7d64f0, v31 :: v_dual_add_f32 v25, v40, v25
	v_mul_f32_e32 v40, 0xbf27a4f4, v12
	v_fmac_f32_e32 v31, 0x3f7d64f0, v11
	v_mul_f32_e32 v12, 0x3f575c64, v12
	v_add_f32_e32 v28, v28, v36
	v_dual_add_f32 v36, v44, v5 :: v_dual_add_f32 v19, v19, v24
	v_fmamk_f32 v24, v11, 0x3f4178ce, v40
	v_dual_fmac_f32 v40, 0xbf4178ce, v11 :: v_dual_sub_f32 v5, v44, v5
	v_add_f32_e32 v7, v22, v7
	s_delay_alu instid0(VALU_DEP_3) | instskip(NEXT) | instid1(VALU_DEP_3)
	v_dual_add_f32 v31, v31, v34 :: v_dual_add_f32 v24, v24, v29
	v_dual_add_f32 v22, v40, v27 :: v_dual_fmamk_f32 v27, v11, 0xbe903f40, v41
	v_mul_f32_e32 v29, 0x3f7d64f0, v38
	v_mul_f32_e32 v38, 0x3f0a6770, v38
	v_fmac_f32_e32 v41, 0x3e903f40, v11
	ds_store_b64 v88, v[2:3]
	v_dual_add_f32 v27, v27, v32 :: v_dual_fmamk_f32 v32, v14, 0xbe11bafb, v29
	v_fma_f32 v29, 0xbe11bafb, v14, -v29
	v_add_f32_e32 v30, v41, v30
	s_delay_alu instid0(VALU_DEP_3) | instskip(NEXT) | instid1(VALU_DEP_3)
	v_dual_add_f32 v32, v32, v35 :: v_dual_fmamk_f32 v35, v14, 0x3f575c64, v38
	v_add_f32_e32 v29, v29, v33
	v_sub_f32_e32 v33, v16, v6
	v_add_f32_e32 v6, v16, v6
	v_fma_f32 v14, 0x3f575c64, v14, -v38
	s_delay_alu instid0(VALU_DEP_2)
	v_mul_f32_e32 v38, 0x3f575c64, v6
	v_add_f32_e32 v34, v35, v37
	v_mul_f32_e32 v37, 0xbf7d64f0, v33
	v_fmamk_f32 v35, v11, 0xbf0a6770, v12
	v_fmac_f32_e32 v12, 0x3f0a6770, v11
	v_mul_f32_e32 v16, 0xbe11bafb, v6
	s_delay_alu instid0(VALU_DEP_4) | instskip(SKIP_1) | instid1(VALU_DEP_3)
	v_dual_add_f32 v0, v14, v0 :: v_dual_fmamk_f32 v11, v36, 0xbe11bafb, v37
	v_mul_f32_e32 v14, 0x3e903f40, v33
	v_dual_add_f32 v1, v12, v1 :: v_dual_fmamk_f32 v12, v5, 0x3f7d64f0, v16
	v_fmac_f32_e32 v16, 0xbf7d64f0, v5
	s_delay_alu instid0(VALU_DEP_4) | instskip(SKIP_1) | instid1(VALU_DEP_4)
	v_add_f32_e32 v11, v11, v25
	v_fma_f32 v25, 0xbe11bafb, v36, -v37
	v_dual_mul_f32 v37, 0xbf75a155, v6 :: v_dual_add_f32 v12, v12, v13
	v_fmamk_f32 v13, v36, 0xbf75a155, v14
	v_add_f32_e32 v16, v16, v19
	s_delay_alu instid0(VALU_DEP_4) | instskip(NEXT) | instid1(VALU_DEP_4)
	v_add_f32_e32 v20, v25, v20
	v_fmamk_f32 v19, v5, 0xbe903f40, v37
	v_mul_f32_e32 v25, 0x3f68dda4, v33
	v_add_f32_e32 v13, v13, v15
	v_fma_f32 v14, 0xbf75a155, v36, -v14
	v_fmac_f32_e32 v37, 0x3e903f40, v5
	v_add_f32_e32 v15, v19, v24
	v_dual_fmamk_f32 v19, v36, 0x3ed4b147, v25 :: v_dual_mul_f32 v24, 0x3ed4b147, v6
	s_delay_alu instid0(VALU_DEP_3) | instskip(NEXT) | instid1(VALU_DEP_2)
	v_dual_add_f32 v7, v14, v7 :: v_dual_add_f32 v14, v37, v22
	v_dual_mul_f32 v22, 0xbf0a6770, v33 :: v_dual_add_f32 v19, v19, v26
	s_delay_alu instid0(VALU_DEP_3) | instskip(SKIP_3) | instid1(VALU_DEP_4)
	v_fmamk_f32 v26, v5, 0xbf68dda4, v24
	v_fmac_f32_e32 v24, 0x3f68dda4, v5
	v_fma_f32 v25, 0x3ed4b147, v36, -v25
	v_mul_f32_e32 v6, 0xbf27a4f4, v6
	v_add_f32_e32 v26, v26, v27
	s_delay_alu instid0(VALU_DEP_4) | instskip(SKIP_3) | instid1(VALU_DEP_3)
	v_dual_add_f32 v24, v24, v30 :: v_dual_fmamk_f32 v27, v5, 0x3f0a6770, v38
	v_mul_f32_e32 v30, 0xbf4178ce, v33
	v_fmac_f32_e32 v38, 0xbf0a6770, v5
	v_add_f32_e32 v33, v45, v21
	v_dual_add_f32 v27, v27, v28 :: v_dual_fmamk_f32 v28, v36, 0xbf27a4f4, v30
	v_fma_f32 v30, 0xbf27a4f4, v36, -v30
	s_delay_alu instid0(VALU_DEP_2) | instskip(NEXT) | instid1(VALU_DEP_2)
	v_add_f32_e32 v28, v28, v34
	v_dual_add_f32 v0, v30, v0 :: v_dual_fmamk_f32 v37, v36, 0x3f575c64, v22
	v_fma_f32 v22, 0x3f575c64, v36, -v22
	s_delay_alu instid0(VALU_DEP_1) | instskip(SKIP_3) | instid1(VALU_DEP_2)
	v_add_f32_e32 v22, v22, v29
	v_add_f32_e32 v29, v38, v31
	v_sub_f32_e32 v31, v18, v4
	v_add_f32_e32 v4, v18, v4
	v_mul_f32_e32 v18, 0xbf4178ce, v31
	s_delay_alu instid0(VALU_DEP_1) | instskip(SKIP_3) | instid1(VALU_DEP_4)
	v_fmamk_f32 v34, v33, 0xbf27a4f4, v18
	v_add_f32_e32 v23, v25, v23
	v_add_f32_e32 v25, v37, v32
	v_fmamk_f32 v32, v5, 0x3f4178ce, v6
	v_dual_fmac_f32 v6, 0xbf4178ce, v5 :: v_dual_add_f32 v11, v34, v11
	v_sub_f32_e32 v5, v45, v21
	v_fma_f32 v18, 0xbf27a4f4, v33, -v18
	s_delay_alu instid0(VALU_DEP_3) | instskip(NEXT) | instid1(VALU_DEP_2)
	v_dual_add_f32 v1, v6, v1 :: v_dual_mul_f32 v6, 0x3f7d64f0, v31
	v_add_f32_e32 v18, v18, v20
	v_mul_f32_e32 v20, 0xbf0a6770, v31
	s_delay_alu instid0(VALU_DEP_3) | instskip(SKIP_1) | instid1(VALU_DEP_2)
	v_fmamk_f32 v34, v33, 0xbe11bafb, v6
	v_fma_f32 v6, 0xbe11bafb, v33, -v6
	v_add_f32_e32 v13, v34, v13
	v_mul_f32_e32 v21, 0xbf27a4f4, v4
	v_dual_mul_f32 v34, 0x3f575c64, v4 :: v_dual_add_f32 v35, v35, v39
	s_delay_alu instid0(VALU_DEP_2) | instskip(NEXT) | instid1(VALU_DEP_1)
	v_fmamk_f32 v30, v5, 0x3f4178ce, v21
	v_dual_fmac_f32 v21, 0xbf4178ce, v5 :: v_dual_add_f32 v12, v30, v12
	v_mul_f32_e32 v30, 0xbe11bafb, v4
	s_delay_alu instid0(VALU_DEP_2) | instskip(NEXT) | instid1(VALU_DEP_2)
	v_add_f32_e32 v16, v21, v16
	v_fmamk_f32 v21, v5, 0xbf7d64f0, v30
	s_delay_alu instid0(VALU_DEP_1)
	v_dual_fmac_f32 v30, 0x3f7d64f0, v5 :: v_dual_add_f32 v15, v21, v15
	v_dual_add_f32 v21, v6, v7 :: v_dual_fmamk_f32 v6, v5, 0x3f0a6770, v34
	v_dual_add_f32 v32, v32, v35 :: v_dual_fmamk_f32 v35, v33, 0x3f575c64, v20
	v_mul_f32_e32 v7, 0xbe903f40, v31
	v_fma_f32 v20, 0x3f575c64, v33, -v20
	v_fmac_f32_e32 v34, 0xbf0a6770, v5
	v_add_f32_e32 v14, v30, v14
	v_add_f32_e32 v26, v6, v26
	v_fmamk_f32 v30, v33, 0xbf75a155, v7
	s_delay_alu instid0(VALU_DEP_4) | instskip(SKIP_2) | instid1(VALU_DEP_4)
	v_dual_add_f32 v20, v20, v23 :: v_dual_add_f32 v23, v34, v24
	v_mul_f32_e32 v24, 0x3f68dda4, v31
	v_fma_f32 v7, 0xbf75a155, v33, -v7
	v_dual_mul_f32 v6, 0xbf75a155, v4 :: v_dual_add_f32 v25, v30, v25
	v_mul_f32_e32 v4, 0x3ed4b147, v4
	s_delay_alu instid0(VALU_DEP_4) | instskip(NEXT) | instid1(VALU_DEP_4)
	v_fmamk_f32 v30, v33, 0x3ed4b147, v24
	v_add_f32_e32 v22, v7, v22
	v_fma_f32 v7, 0x3ed4b147, v33, -v24
	v_dual_add_f32 v24, v8, v10 :: v_dual_sub_f32 v33, v17, v9
	s_delay_alu instid0(VALU_DEP_4) | instskip(SKIP_1) | instid1(VALU_DEP_4)
	v_add_f32_e32 v28, v30, v28
	v_sub_f32_e32 v30, v8, v10
	v_dual_add_f32 v0, v7, v0 :: v_dual_fmamk_f32 v31, v5, 0x3e903f40, v6
	v_fmac_f32_e32 v6, 0xbe903f40, v5
	s_delay_alu instid0(VALU_DEP_3) | instskip(NEXT) | instid1(VALU_DEP_3)
	v_mul_f32_e32 v8, 0xbe903f40, v30
	v_dual_mul_f32 v10, 0x3f0a6770, v30 :: v_dual_add_f32 v27, v31, v27
	v_add_f32_e32 v31, v17, v9
	s_delay_alu instid0(VALU_DEP_4) | instskip(SKIP_2) | instid1(VALU_DEP_4)
	v_dual_add_f32 v29, v6, v29 :: v_dual_fmamk_f32 v6, v5, 0xbf68dda4, v4
	v_fmac_f32_e32 v4, 0x3f68dda4, v5
	v_mul_f32_e32 v9, 0xbf75a155, v24
	v_fmamk_f32 v5, v31, 0xbf75a155, v8
	v_fma_f32 v7, 0xbf75a155, v31, -v8
	s_delay_alu instid0(VALU_DEP_4) | instskip(NEXT) | instid1(VALU_DEP_4)
	v_dual_add_f32 v32, v6, v32 :: v_dual_add_f32 v1, v4, v1
	v_fmamk_f32 v6, v33, 0x3e903f40, v9
	s_delay_alu instid0(VALU_DEP_4) | instskip(SKIP_1) | instid1(VALU_DEP_3)
	v_dual_add_f32 v4, v5, v11 :: v_dual_fmac_f32 v9, 0xbe903f40, v33
	v_dual_mul_f32 v11, 0x3f575c64, v24 :: v_dual_fmamk_f32 v8, v31, 0x3f575c64, v10
	v_dual_add_f32 v5, v6, v12 :: v_dual_add_f32 v6, v7, v18
	s_delay_alu instid0(VALU_DEP_3) | instskip(NEXT) | instid1(VALU_DEP_3)
	v_dual_add_f32 v7, v9, v16 :: v_dual_mul_f32 v16, 0xbf4178ce, v30
	v_fmamk_f32 v9, v33, 0xbf0a6770, v11
	v_fmac_f32_e32 v11, 0x3f0a6770, v33
	v_mul_f32_e32 v17, 0xbf27a4f4, v24
	v_mul_f32_e32 v18, 0x3f68dda4, v30
	v_fma_f32 v10, 0x3f575c64, v31, -v10
	v_fmamk_f32 v12, v31, 0xbf27a4f4, v16
	v_add_f32_e32 v11, v11, v14
	v_fma_f32 v14, 0xbf27a4f4, v31, -v16
	v_fmamk_f32 v16, v31, 0x3ed4b147, v18
	v_dual_add_f32 v8, v8, v13 :: v_dual_fmamk_f32 v13, v33, 0x3f4178ce, v17
	s_delay_alu instid0(VALU_DEP_3) | instskip(SKIP_4) | instid1(VALU_DEP_4)
	v_dual_fmac_f32 v17, 0xbf4178ce, v33 :: v_dual_add_f32 v14, v14, v20
	v_fma_f32 v18, 0x3ed4b147, v31, -v18
	v_mul_f32_e32 v20, 0xbf7d64f0, v30
	v_dual_add_f32 v10, v10, v21 :: v_dual_add_f32 v19, v35, v19
	v_add_f32_e32 v16, v16, v25
	v_dual_add_f32 v18, v18, v22 :: v_dual_add_f32 v9, v9, v15
	v_add_f32_e32 v15, v17, v23
	s_delay_alu instid0(VALU_DEP_4) | instskip(SKIP_3) | instid1(VALU_DEP_4)
	v_dual_mul_f32 v23, 0xbe11bafb, v24 :: v_dual_add_f32 v12, v12, v19
	v_mul_f32_e32 v19, 0x3ed4b147, v24
	v_fmamk_f32 v21, v31, 0xbe11bafb, v20
	v_fma_f32 v24, 0xbe11bafb, v31, -v20
	v_fmamk_f32 v22, v33, 0x3f7d64f0, v23
	v_fmac_f32_e32 v23, 0xbf7d64f0, v33
	v_fmamk_f32 v17, v33, 0xbf68dda4, v19
	v_dual_fmac_f32 v19, 0x3f68dda4, v33 :: v_dual_add_f32 v20, v21, v28
	s_delay_alu instid0(VALU_DEP_4) | instskip(NEXT) | instid1(VALU_DEP_4)
	v_add_f32_e32 v21, v22, v32
	v_dual_add_f32 v22, v24, v0 :: v_dual_add_f32 v23, v23, v1
	v_add_nc_u32_e32 v1, 0x400, v88
	v_dual_add_f32 v13, v13, v26 :: v_dual_add_nc_u32 v0, 0x800, v88
	v_add_f32_e32 v17, v17, v27
	v_add_f32_e32 v19, v19, v29
	ds_store_2addr_b64 v88, v[4:5], v[8:9] offset0:34 offset1:68
	ds_store_2addr_b64 v88, v[12:13], v[16:17] offset0:102 offset1:136
	;; [unrolled: 1-line block ×5, first 2 shown]
	global_wb scope:SCOPE_SE
	s_wait_dscnt 0x0
	s_barrier_signal -1
	s_barrier_wait -1
	global_inv scope:SCOPE_SE
	s_and_b32 exec_lo, exec_lo, vcc_lo
	s_cbranch_execz .LBB0_23
; %bb.22:
	global_load_b64 v[2:3], v84, s[12:13]
	ds_load_b64 v[4:5], v88
	v_mad_co_u64_u32 v[8:9], null, s4, v85, 0
	s_mov_b32 s0, 0xb8d015e7
	s_mov_b32 s1, 0x3f65e75b
	s_mul_u64 s[2:3], s[4:5], 0xb0
	s_wait_loadcnt_dscnt 0x0
	v_mul_f32_e32 v6, v5, v3
	v_mul_f32_e32 v3, v4, v3
	s_delay_alu instid0(VALU_DEP_2) | instskip(NEXT) | instid1(VALU_DEP_2)
	v_fmac_f32_e32 v6, v4, v2
	v_fma_f32 v4, v2, v5, -v3
	s_delay_alu instid0(VALU_DEP_2) | instskip(NEXT) | instid1(VALU_DEP_2)
	v_cvt_f64_f32_e32 v[2:3], v6
	v_cvt_f64_f32_e32 v[4:5], v4
	v_mad_co_u64_u32 v[6:7], null, s6, v48, 0
	s_wait_alu 0xfffe
	s_delay_alu instid0(VALU_DEP_3) | instskip(NEXT) | instid1(VALU_DEP_3)
	v_mul_f64_e32 v[2:3], s[0:1], v[2:3]
	v_mul_f64_e32 v[4:5], s[0:1], v[4:5]
	s_delay_alu instid0(VALU_DEP_2) | instskip(NEXT) | instid1(VALU_DEP_2)
	v_cvt_f32_f64_e32 v2, v[2:3]
	v_cvt_f32_f64_e32 v3, v[4:5]
	v_dual_mov_b32 v5, v9 :: v_dual_mov_b32 v4, v7
	s_delay_alu instid0(VALU_DEP_1) | instskip(SKIP_1) | instid1(VALU_DEP_2)
	v_mad_co_u64_u32 v[9:10], null, s7, v48, v[4:5]
	v_mad_co_u64_u32 v[4:5], null, s5, v85, v[5:6]
	v_mov_b32_e32 v7, v9
	s_delay_alu instid0(VALU_DEP_2) | instskip(NEXT) | instid1(VALU_DEP_2)
	v_mov_b32_e32 v9, v4
	v_lshlrev_b64_e32 v[4:5], 3, v[6:7]
	s_delay_alu instid0(VALU_DEP_2) | instskip(NEXT) | instid1(VALU_DEP_2)
	v_lshlrev_b64_e32 v[6:7], 3, v[8:9]
	v_add_co_u32 v10, vcc_lo, s14, v4
	s_delay_alu instid0(VALU_DEP_3) | instskip(NEXT) | instid1(VALU_DEP_2)
	v_add_co_ci_u32_e32 v11, vcc_lo, s15, v5, vcc_lo
	v_add_co_u32 v6, vcc_lo, v10, v6
	s_wait_alu 0xfffd
	s_delay_alu instid0(VALU_DEP_2)
	v_add_co_ci_u32_e32 v7, vcc_lo, v11, v7, vcc_lo
	global_store_b64 v[6:7], v[2:3], off
	global_load_b64 v[8:9], v84, s[12:13] offset:176
	ds_load_2addr_b64 v[2:5], v88 offset0:22 offset1:44
	v_add_co_u32 v6, vcc_lo, v6, s2
	s_wait_alu 0xfffd
	v_add_co_ci_u32_e32 v7, vcc_lo, s3, v7, vcc_lo
	s_wait_loadcnt_dscnt 0x0
	v_mul_f32_e32 v12, v3, v9
	v_mul_f32_e32 v9, v2, v9
	s_delay_alu instid0(VALU_DEP_2) | instskip(NEXT) | instid1(VALU_DEP_2)
	v_fmac_f32_e32 v12, v2, v8
	v_fma_f32 v8, v8, v3, -v9
	s_delay_alu instid0(VALU_DEP_2) | instskip(NEXT) | instid1(VALU_DEP_2)
	v_cvt_f64_f32_e32 v[2:3], v12
	v_cvt_f64_f32_e32 v[8:9], v8
	s_delay_alu instid0(VALU_DEP_2) | instskip(NEXT) | instid1(VALU_DEP_2)
	v_mul_f64_e32 v[2:3], s[0:1], v[2:3]
	v_mul_f64_e32 v[8:9], s[0:1], v[8:9]
	s_delay_alu instid0(VALU_DEP_2) | instskip(NEXT) | instid1(VALU_DEP_2)
	v_cvt_f32_f64_e32 v2, v[2:3]
	v_cvt_f32_f64_e32 v3, v[8:9]
	global_store_b64 v[6:7], v[2:3], off
	global_load_b64 v[2:3], v84, s[12:13] offset:352
	v_add_co_u32 v6, vcc_lo, v6, s2
	s_wait_alu 0xfffd
	v_add_co_ci_u32_e32 v7, vcc_lo, s3, v7, vcc_lo
	s_wait_loadcnt 0x0
	v_mul_f32_e32 v8, v5, v3
	v_mul_f32_e32 v3, v4, v3
	s_delay_alu instid0(VALU_DEP_2) | instskip(NEXT) | instid1(VALU_DEP_2)
	v_fmac_f32_e32 v8, v4, v2
	v_fma_f32 v4, v2, v5, -v3
	s_delay_alu instid0(VALU_DEP_2) | instskip(NEXT) | instid1(VALU_DEP_2)
	v_cvt_f64_f32_e32 v[2:3], v8
	v_cvt_f64_f32_e32 v[4:5], v4
	s_delay_alu instid0(VALU_DEP_2) | instskip(NEXT) | instid1(VALU_DEP_2)
	v_mul_f64_e32 v[2:3], s[0:1], v[2:3]
	v_mul_f64_e32 v[4:5], s[0:1], v[4:5]
	s_delay_alu instid0(VALU_DEP_2) | instskip(NEXT) | instid1(VALU_DEP_2)
	v_cvt_f32_f64_e32 v2, v[2:3]
	v_cvt_f32_f64_e32 v3, v[4:5]
	global_store_b64 v[6:7], v[2:3], off
	global_load_b64 v[8:9], v84, s[12:13] offset:528
	ds_load_2addr_b64 v[2:5], v88 offset0:66 offset1:88
	v_add_co_u32 v6, vcc_lo, v6, s2
	s_wait_alu 0xfffd
	v_add_co_ci_u32_e32 v7, vcc_lo, s3, v7, vcc_lo
	s_wait_loadcnt_dscnt 0x0
	v_mul_f32_e32 v12, v3, v9
	v_mul_f32_e32 v9, v2, v9
	s_delay_alu instid0(VALU_DEP_2) | instskip(NEXT) | instid1(VALU_DEP_2)
	v_fmac_f32_e32 v12, v2, v8
	v_fma_f32 v8, v8, v3, -v9
	s_delay_alu instid0(VALU_DEP_2) | instskip(NEXT) | instid1(VALU_DEP_2)
	v_cvt_f64_f32_e32 v[2:3], v12
	v_cvt_f64_f32_e32 v[8:9], v8
	s_delay_alu instid0(VALU_DEP_2) | instskip(NEXT) | instid1(VALU_DEP_2)
	v_mul_f64_e32 v[2:3], s[0:1], v[2:3]
	v_mul_f64_e32 v[8:9], s[0:1], v[8:9]
	s_delay_alu instid0(VALU_DEP_2) | instskip(NEXT) | instid1(VALU_DEP_2)
	v_cvt_f32_f64_e32 v2, v[2:3]
	v_cvt_f32_f64_e32 v3, v[8:9]
	global_store_b64 v[6:7], v[2:3], off
	global_load_b64 v[2:3], v84, s[12:13] offset:704
	v_add_co_u32 v6, vcc_lo, v6, s2
	s_wait_alu 0xfffd
	v_add_co_ci_u32_e32 v7, vcc_lo, s3, v7, vcc_lo
	s_wait_loadcnt 0x0
	v_mul_f32_e32 v8, v5, v3
	v_mul_f32_e32 v3, v4, v3
	s_delay_alu instid0(VALU_DEP_2) | instskip(NEXT) | instid1(VALU_DEP_2)
	v_fmac_f32_e32 v8, v4, v2
	v_fma_f32 v4, v2, v5, -v3
	s_delay_alu instid0(VALU_DEP_2) | instskip(NEXT) | instid1(VALU_DEP_2)
	v_cvt_f64_f32_e32 v[2:3], v8
	v_cvt_f64_f32_e32 v[4:5], v4
	s_delay_alu instid0(VALU_DEP_2) | instskip(NEXT) | instid1(VALU_DEP_2)
	v_mul_f64_e32 v[2:3], s[0:1], v[2:3]
	v_mul_f64_e32 v[4:5], s[0:1], v[4:5]
	s_delay_alu instid0(VALU_DEP_2) | instskip(NEXT) | instid1(VALU_DEP_2)
	v_cvt_f32_f64_e32 v2, v[2:3]
	v_cvt_f32_f64_e32 v3, v[4:5]
	;; [unrolled: 41-line block ×4, first 2 shown]
	global_store_b64 v[6:7], v[2:3], off
	global_load_b64 v[8:9], v84, s[12:13] offset:1584
	ds_load_2addr_b64 v[2:5], v88 offset0:198 offset1:220
	v_add_co_u32 v6, vcc_lo, v6, s2
	s_wait_alu 0xfffd
	v_add_co_ci_u32_e32 v7, vcc_lo, s3, v7, vcc_lo
	s_wait_loadcnt_dscnt 0x0
	v_mul_f32_e32 v12, v3, v9
	v_mul_f32_e32 v9, v2, v9
	s_delay_alu instid0(VALU_DEP_2) | instskip(NEXT) | instid1(VALU_DEP_2)
	v_fmac_f32_e32 v12, v2, v8
	v_fma_f32 v8, v8, v3, -v9
	s_delay_alu instid0(VALU_DEP_2) | instskip(NEXT) | instid1(VALU_DEP_2)
	v_cvt_f64_f32_e32 v[2:3], v12
	v_cvt_f64_f32_e32 v[8:9], v8
	s_delay_alu instid0(VALU_DEP_2) | instskip(NEXT) | instid1(VALU_DEP_2)
	v_mul_f64_e32 v[2:3], s[0:1], v[2:3]
	v_mul_f64_e32 v[8:9], s[0:1], v[8:9]
	s_delay_alu instid0(VALU_DEP_2) | instskip(NEXT) | instid1(VALU_DEP_2)
	v_cvt_f32_f64_e32 v2, v[2:3]
	v_cvt_f32_f64_e32 v3, v[8:9]
	global_store_b64 v[6:7], v[2:3], off
	global_load_b64 v[2:3], v84, s[12:13] offset:1760
	s_wait_loadcnt 0x0
	v_mul_f32_e32 v8, v5, v3
	v_mul_f32_e32 v3, v4, v3
	s_delay_alu instid0(VALU_DEP_2) | instskip(NEXT) | instid1(VALU_DEP_2)
	v_fmac_f32_e32 v8, v4, v2
	v_fma_f32 v4, v2, v5, -v3
	s_delay_alu instid0(VALU_DEP_2) | instskip(NEXT) | instid1(VALU_DEP_2)
	v_cvt_f64_f32_e32 v[2:3], v8
	v_cvt_f64_f32_e32 v[4:5], v4
	s_delay_alu instid0(VALU_DEP_2) | instskip(NEXT) | instid1(VALU_DEP_2)
	v_mul_f64_e32 v[2:3], s[0:1], v[2:3]
	v_mul_f64_e32 v[4:5], s[0:1], v[4:5]
	s_delay_alu instid0(VALU_DEP_2) | instskip(NEXT) | instid1(VALU_DEP_2)
	v_cvt_f32_f64_e32 v2, v[2:3]
	v_cvt_f32_f64_e32 v3, v[4:5]
	v_add_co_u32 v5, vcc_lo, v6, s2
	s_wait_alu 0xfffd
	v_add_co_ci_u32_e32 v6, vcc_lo, s3, v7, vcc_lo
	global_store_b64 v[5:6], v[2:3], off
	global_load_b64 v[7:8], v84, s[12:13] offset:1936
	ds_load_2addr_b64 v[1:4], v1 offset0:114 offset1:136
	v_add_co_u32 v5, vcc_lo, v5, s2
	s_wait_alu 0xfffd
	v_add_co_ci_u32_e32 v6, vcc_lo, s3, v6, vcc_lo
	s_wait_loadcnt_dscnt 0x0
	v_mul_f32_e32 v9, v2, v8
	v_mul_f32_e32 v8, v1, v8
	s_delay_alu instid0(VALU_DEP_2) | instskip(NEXT) | instid1(VALU_DEP_2)
	v_fmac_f32_e32 v9, v1, v7
	v_fma_f32 v7, v7, v2, -v8
	s_delay_alu instid0(VALU_DEP_2) | instskip(NEXT) | instid1(VALU_DEP_2)
	v_cvt_f64_f32_e32 v[1:2], v9
	v_cvt_f64_f32_e32 v[7:8], v7
	s_delay_alu instid0(VALU_DEP_2) | instskip(NEXT) | instid1(VALU_DEP_2)
	v_mul_f64_e32 v[1:2], s[0:1], v[1:2]
	v_mul_f64_e32 v[7:8], s[0:1], v[7:8]
	s_delay_alu instid0(VALU_DEP_2) | instskip(NEXT) | instid1(VALU_DEP_2)
	v_cvt_f32_f64_e32 v1, v[1:2]
	v_cvt_f32_f64_e32 v2, v[7:8]
	global_store_b64 v[5:6], v[1:2], off
	global_load_b64 v[1:2], v84, s[12:13] offset:2112
	v_add_co_u32 v5, vcc_lo, v5, s2
	s_wait_alu 0xfffd
	v_add_co_ci_u32_e32 v6, vcc_lo, s3, v6, vcc_lo
	s_wait_loadcnt 0x0
	v_mul_f32_e32 v7, v4, v2
	v_mul_f32_e32 v2, v3, v2
	s_delay_alu instid0(VALU_DEP_2) | instskip(NEXT) | instid1(VALU_DEP_2)
	v_fmac_f32_e32 v7, v3, v1
	v_fma_f32 v3, v1, v4, -v2
	s_delay_alu instid0(VALU_DEP_2) | instskip(NEXT) | instid1(VALU_DEP_2)
	v_cvt_f64_f32_e32 v[1:2], v7
	v_cvt_f64_f32_e32 v[3:4], v3
	s_delay_alu instid0(VALU_DEP_2) | instskip(NEXT) | instid1(VALU_DEP_2)
	v_mul_f64_e32 v[1:2], s[0:1], v[1:2]
	v_mul_f64_e32 v[3:4], s[0:1], v[3:4]
	s_delay_alu instid0(VALU_DEP_2) | instskip(NEXT) | instid1(VALU_DEP_2)
	v_cvt_f32_f64_e32 v1, v[1:2]
	v_cvt_f32_f64_e32 v2, v[3:4]
	global_store_b64 v[5:6], v[1:2], off
	global_load_b64 v[7:8], v84, s[12:13] offset:2288
	ds_load_2addr_b64 v[1:4], v0 offset0:30 offset1:52
	v_add_co_u32 v5, vcc_lo, v5, s2
	s_wait_alu 0xfffd
	v_add_co_ci_u32_e32 v6, vcc_lo, s3, v6, vcc_lo
	s_wait_loadcnt_dscnt 0x0
	v_mul_f32_e32 v9, v2, v8
	v_mul_f32_e32 v8, v1, v8
	s_delay_alu instid0(VALU_DEP_2) | instskip(NEXT) | instid1(VALU_DEP_2)
	v_fmac_f32_e32 v9, v1, v7
	v_fma_f32 v7, v7, v2, -v8
	s_delay_alu instid0(VALU_DEP_2) | instskip(NEXT) | instid1(VALU_DEP_2)
	v_cvt_f64_f32_e32 v[1:2], v9
	v_cvt_f64_f32_e32 v[7:8], v7
	s_delay_alu instid0(VALU_DEP_2) | instskip(NEXT) | instid1(VALU_DEP_2)
	v_mul_f64_e32 v[1:2], s[0:1], v[1:2]
	v_mul_f64_e32 v[7:8], s[0:1], v[7:8]
	s_delay_alu instid0(VALU_DEP_2) | instskip(NEXT) | instid1(VALU_DEP_2)
	v_cvt_f32_f64_e32 v1, v[1:2]
	v_cvt_f32_f64_e32 v2, v[7:8]
	global_store_b64 v[5:6], v[1:2], off
	global_load_b64 v[1:2], v84, s[12:13] offset:2464
	s_wait_loadcnt 0x0
	v_mul_f32_e32 v7, v4, v2
	v_mul_f32_e32 v2, v3, v2
	s_delay_alu instid0(VALU_DEP_2) | instskip(NEXT) | instid1(VALU_DEP_2)
	v_fmac_f32_e32 v7, v3, v1
	v_fma_f32 v3, v1, v4, -v2
	s_delay_alu instid0(VALU_DEP_2) | instskip(NEXT) | instid1(VALU_DEP_2)
	v_cvt_f64_f32_e32 v[1:2], v7
	v_cvt_f64_f32_e32 v[3:4], v3
	s_delay_alu instid0(VALU_DEP_2) | instskip(NEXT) | instid1(VALU_DEP_2)
	v_mul_f64_e32 v[1:2], s[0:1], v[1:2]
	v_mul_f64_e32 v[3:4], s[0:1], v[3:4]
	s_delay_alu instid0(VALU_DEP_2) | instskip(NEXT) | instid1(VALU_DEP_2)
	v_cvt_f32_f64_e32 v1, v[1:2]
	v_cvt_f32_f64_e32 v2, v[3:4]
	v_add_co_u32 v4, vcc_lo, v5, s2
	s_wait_alu 0xfffd
	v_add_co_ci_u32_e32 v5, vcc_lo, s3, v6, vcc_lo
	global_store_b64 v[4:5], v[1:2], off
	global_load_b64 v[6:7], v84, s[12:13] offset:2640
	ds_load_2addr_b64 v[0:3], v0 offset0:74 offset1:96
	v_add_co_u32 v4, vcc_lo, v4, s2
	s_wait_alu 0xfffd
	v_add_co_ci_u32_e32 v5, vcc_lo, s3, v5, vcc_lo
	s_wait_loadcnt_dscnt 0x0
	v_mul_f32_e32 v8, v1, v7
	v_mul_f32_e32 v7, v0, v7
	s_delay_alu instid0(VALU_DEP_2) | instskip(NEXT) | instid1(VALU_DEP_2)
	v_fmac_f32_e32 v8, v0, v6
	v_fma_f32 v6, v6, v1, -v7
	s_delay_alu instid0(VALU_DEP_2) | instskip(NEXT) | instid1(VALU_DEP_2)
	v_cvt_f64_f32_e32 v[0:1], v8
	v_cvt_f64_f32_e32 v[6:7], v6
	s_delay_alu instid0(VALU_DEP_2) | instskip(NEXT) | instid1(VALU_DEP_2)
	v_mul_f64_e32 v[0:1], s[0:1], v[0:1]
	v_mul_f64_e32 v[6:7], s[0:1], v[6:7]
	s_delay_alu instid0(VALU_DEP_2) | instskip(NEXT) | instid1(VALU_DEP_2)
	v_cvt_f32_f64_e32 v0, v[0:1]
	v_cvt_f32_f64_e32 v1, v[6:7]
	global_store_b64 v[4:5], v[0:1], off
	global_load_b64 v[0:1], v84, s[12:13] offset:2816
	s_wait_loadcnt 0x0
	v_mul_f32_e32 v4, v3, v1
	v_mul_f32_e32 v1, v2, v1
	s_delay_alu instid0(VALU_DEP_2) | instskip(NEXT) | instid1(VALU_DEP_2)
	v_fmac_f32_e32 v4, v2, v0
	v_fma_f32 v2, v0, v3, -v1
	s_delay_alu instid0(VALU_DEP_2) | instskip(NEXT) | instid1(VALU_DEP_2)
	v_cvt_f64_f32_e32 v[0:1], v4
	v_cvt_f64_f32_e32 v[2:3], v2
	v_mad_co_u64_u32 v[4:5], null, s4, v83, 0
	s_delay_alu instid0(VALU_DEP_3) | instskip(NEXT) | instid1(VALU_DEP_3)
	v_mul_f64_e32 v[0:1], s[0:1], v[0:1]
	v_mul_f64_e32 v[2:3], s[0:1], v[2:3]
	s_delay_alu instid0(VALU_DEP_2) | instskip(NEXT) | instid1(VALU_DEP_2)
	v_cvt_f32_f64_e32 v0, v[0:1]
	v_cvt_f32_f64_e32 v1, v[2:3]
	v_mov_b32_e32 v2, v5
	s_delay_alu instid0(VALU_DEP_1) | instskip(NEXT) | instid1(VALU_DEP_1)
	v_mad_co_u64_u32 v[2:3], null, s5, v83, v[2:3]
	v_mov_b32_e32 v5, v2
	s_delay_alu instid0(VALU_DEP_1) | instskip(NEXT) | instid1(VALU_DEP_1)
	v_lshlrev_b64_e32 v[2:3], 3, v[4:5]
	v_add_co_u32 v2, vcc_lo, v10, v2
	s_wait_alu 0xfffd
	s_delay_alu instid0(VALU_DEP_2)
	v_add_co_ci_u32_e32 v3, vcc_lo, v11, v3, vcc_lo
	global_store_b64 v[2:3], v[0:1], off
.LBB0_23:
	s_nop 0
	s_sendmsg sendmsg(MSG_DEALLOC_VGPRS)
	s_endpgm
	.section	.rodata,"a",@progbits
	.p2align	6, 0x0
	.amdhsa_kernel bluestein_single_back_len374_dim1_sp_op_CI_CI
		.amdhsa_group_segment_fixed_size 20944
		.amdhsa_private_segment_fixed_size 0
		.amdhsa_kernarg_size 104
		.amdhsa_user_sgpr_count 2
		.amdhsa_user_sgpr_dispatch_ptr 0
		.amdhsa_user_sgpr_queue_ptr 0
		.amdhsa_user_sgpr_kernarg_segment_ptr 1
		.amdhsa_user_sgpr_dispatch_id 0
		.amdhsa_user_sgpr_private_segment_size 0
		.amdhsa_wavefront_size32 1
		.amdhsa_uses_dynamic_stack 0
		.amdhsa_enable_private_segment 0
		.amdhsa_system_sgpr_workgroup_id_x 1
		.amdhsa_system_sgpr_workgroup_id_y 0
		.amdhsa_system_sgpr_workgroup_id_z 0
		.amdhsa_system_sgpr_workgroup_info 0
		.amdhsa_system_vgpr_workitem_id 0
		.amdhsa_next_free_vgpr 216
		.amdhsa_next_free_sgpr 16
		.amdhsa_reserve_vcc 1
		.amdhsa_float_round_mode_32 0
		.amdhsa_float_round_mode_16_64 0
		.amdhsa_float_denorm_mode_32 3
		.amdhsa_float_denorm_mode_16_64 3
		.amdhsa_fp16_overflow 0
		.amdhsa_workgroup_processor_mode 1
		.amdhsa_memory_ordered 1
		.amdhsa_forward_progress 0
		.amdhsa_round_robin_scheduling 0
		.amdhsa_exception_fp_ieee_invalid_op 0
		.amdhsa_exception_fp_denorm_src 0
		.amdhsa_exception_fp_ieee_div_zero 0
		.amdhsa_exception_fp_ieee_overflow 0
		.amdhsa_exception_fp_ieee_underflow 0
		.amdhsa_exception_fp_ieee_inexact 0
		.amdhsa_exception_int_div_zero 0
	.end_amdhsa_kernel
	.text
.Lfunc_end0:
	.size	bluestein_single_back_len374_dim1_sp_op_CI_CI, .Lfunc_end0-bluestein_single_back_len374_dim1_sp_op_CI_CI
                                        ; -- End function
	.section	.AMDGPU.csdata,"",@progbits
; Kernel info:
; codeLenInByte = 22240
; NumSgprs: 18
; NumVgprs: 216
; ScratchSize: 0
; MemoryBound: 0
; FloatMode: 240
; IeeeMode: 1
; LDSByteSize: 20944 bytes/workgroup (compile time only)
; SGPRBlocks: 2
; VGPRBlocks: 26
; NumSGPRsForWavesPerEU: 18
; NumVGPRsForWavesPerEU: 216
; Occupancy: 7
; WaveLimiterHint : 1
; COMPUTE_PGM_RSRC2:SCRATCH_EN: 0
; COMPUTE_PGM_RSRC2:USER_SGPR: 2
; COMPUTE_PGM_RSRC2:TRAP_HANDLER: 0
; COMPUTE_PGM_RSRC2:TGID_X_EN: 1
; COMPUTE_PGM_RSRC2:TGID_Y_EN: 0
; COMPUTE_PGM_RSRC2:TGID_Z_EN: 0
; COMPUTE_PGM_RSRC2:TIDIG_COMP_CNT: 0
	.text
	.p2alignl 7, 3214868480
	.fill 96, 4, 3214868480
	.type	__hip_cuid_9b8d104016991dba,@object ; @__hip_cuid_9b8d104016991dba
	.section	.bss,"aw",@nobits
	.globl	__hip_cuid_9b8d104016991dba
__hip_cuid_9b8d104016991dba:
	.byte	0                               ; 0x0
	.size	__hip_cuid_9b8d104016991dba, 1

	.ident	"AMD clang version 19.0.0git (https://github.com/RadeonOpenCompute/llvm-project roc-6.4.0 25133 c7fe45cf4b819c5991fe208aaa96edf142730f1d)"
	.section	".note.GNU-stack","",@progbits
	.addrsig
	.addrsig_sym __hip_cuid_9b8d104016991dba
	.amdgpu_metadata
---
amdhsa.kernels:
  - .args:
      - .actual_access:  read_only
        .address_space:  global
        .offset:         0
        .size:           8
        .value_kind:     global_buffer
      - .actual_access:  read_only
        .address_space:  global
        .offset:         8
        .size:           8
        .value_kind:     global_buffer
      - .actual_access:  read_only
        .address_space:  global
        .offset:         16
        .size:           8
        .value_kind:     global_buffer
      - .actual_access:  read_only
        .address_space:  global
        .offset:         24
        .size:           8
        .value_kind:     global_buffer
      - .actual_access:  read_only
        .address_space:  global
        .offset:         32
        .size:           8
        .value_kind:     global_buffer
      - .offset:         40
        .size:           8
        .value_kind:     by_value
      - .address_space:  global
        .offset:         48
        .size:           8
        .value_kind:     global_buffer
      - .address_space:  global
        .offset:         56
        .size:           8
        .value_kind:     global_buffer
      - .address_space:  global
        .offset:         64
        .size:           8
        .value_kind:     global_buffer
      - .address_space:  global
        .offset:         72
        .size:           8
        .value_kind:     global_buffer
      - .offset:         80
        .size:           4
        .value_kind:     by_value
      - .address_space:  global
        .offset:         88
        .size:           8
        .value_kind:     global_buffer
      - .address_space:  global
        .offset:         96
        .size:           8
        .value_kind:     global_buffer
    .group_segment_fixed_size: 20944
    .kernarg_segment_align: 8
    .kernarg_segment_size: 104
    .language:       OpenCL C
    .language_version:
      - 2
      - 0
    .max_flat_workgroup_size: 238
    .name:           bluestein_single_back_len374_dim1_sp_op_CI_CI
    .private_segment_fixed_size: 0
    .sgpr_count:     18
    .sgpr_spill_count: 0
    .symbol:         bluestein_single_back_len374_dim1_sp_op_CI_CI.kd
    .uniform_work_group_size: 1
    .uses_dynamic_stack: false
    .vgpr_count:     216
    .vgpr_spill_count: 0
    .wavefront_size: 32
    .workgroup_processor_mode: 1
amdhsa.target:   amdgcn-amd-amdhsa--gfx1201
amdhsa.version:
  - 1
  - 2
...

	.end_amdgpu_metadata
